;; amdgpu-corpus repo=ROCm/rccl kind=compiled arch=gfx1250 opt=O3
	.amdgcn_target "amdgcn-amd-amdhsa--gfx1250"
	.amdhsa_code_object_version 6
	.text
	.p2align	2                               ; -- Begin function _ZN12_GLOBAL__N_17runRingI14__hip_fp8_e4m313FuncPreMulSumIS1_E7ProtoLLLi0ELi1ELi0EEEviiP15ncclDevWorkColl
	.type	_ZN12_GLOBAL__N_17runRingI14__hip_fp8_e4m313FuncPreMulSumIS1_E7ProtoLLLi0ELi1ELi0EEEviiP15ncclDevWorkColl,@function
_ZN12_GLOBAL__N_17runRingI14__hip_fp8_e4m313FuncPreMulSumIS1_E7ProtoLLLi0ELi1ELi0EEEviiP15ncclDevWorkColl: ; @_ZN12_GLOBAL__N_17runRingI14__hip_fp8_e4m313FuncPreMulSumIS1_E7ProtoLLLi0ELi1ELi0EEEviiP15ncclDevWorkColl
; %bb.0:
	s_wait_loadcnt_dscnt 0x0
	s_wait_kmcnt 0x0
	s_clause 0x19
	scratch_store_b32 off, v40, s32 offset:100
	; meta instruction
	scratch_store_b32 off, v41, s32 offset:96
	; meta instruction
	;; [unrolled: 2-line block ×25, first 2 shown]
	scratch_store_b32 off, v89, s32
	s_trap 2
	s_clause 0x2
	flat_load_b32 v12, v[2:3]
	flat_load_b128 v[4:7], v[2:3] offset:72
	flat_load_b64 v[66:67], v[2:3] offset:88
	v_mov_b32_e32 v20, v1
	ds_load_b32 v8, v0
	ds_load_b64 v[22:23], v0
	s_mov_b32 s0, exec_lo
                                        ; implicit-def: $vgpr64_vgpr65
                                        ; implicit-def: $vgpr24_vgpr25
	s_wait_dscnt 0x1
	v_readfirstlane_b32 s10, v8
	s_wait_loadcnt 0x2
	v_bfe_u32 v9, v12, 8, 8
	v_bitop3_b32 v1, v12, 0xff, v12 bitop3:0x3f
	s_delay_alu instid0(VALU_DEP_1) | instskip(NEXT) | instid1(VALU_DEP_1)
	v_add_nc_u32_e32 v10, v9, v1
	v_ashrrev_i32_e32 v11, 31, v10
	s_wait_loadcnt 0x1
	s_delay_alu instid0(VALU_DEP_1) | instskip(SKIP_2) | instid1(VALU_DEP_1)
	v_mul_u64_e32 v[18:19], v[6:7], v[10:11]
	v_and_b32_e32 v10, 0xff, v12
	s_wait_xcnt 0x0
	v_cmpx_ne_u32_e64 v8, v10
	s_xor_b32 s0, exec_lo, s0
	s_cbranch_execz .LBB0_6
; %bb.1:
	s_mov_b32 s1, exec_lo
                                        ; implicit-def: $vgpr64_vgpr65
                                        ; implicit-def: $vgpr24_vgpr25
	v_cmpx_ne_u32_e64 v8, v9
	s_xor_b32 s1, exec_lo, s1
	s_cbranch_execz .LBB0_3
; %bb.2:
	flat_load_b64 v[10:11], v[2:3] offset:96
	v_add_nc_u32_e32 v1, v8, v1
	s_delay_alu instid0(VALU_DEP_1) | instskip(NEXT) | instid1(VALU_DEP_1)
	v_mad_nc_u64_u32 v[24:25], v6, v1, v[4:5]
	v_mad_u32 v8, v7, v1, v25
	v_ashrrev_i32_e32 v1, 31, v1
	s_delay_alu instid0(VALU_DEP_1)
	v_mad_u32 v25, v6, v1, v8
	s_wait_loadcnt_dscnt 0x0
	v_lshrrev_b64 v[64:65], 17, v[10:11]
.LBB0_3:
	s_wait_xcnt 0x0
	s_and_not1_saveexec_b32 s1, s1
	s_cbranch_execz .LBB0_5
; %bb.4:
	flat_load_b32 v1, v[2:3] offset:100
	v_add_nc_u64_e32 v[24:25], v[18:19], v[4:5]
	s_wait_loadcnt 0x1
	v_mov_b64_e32 v[6:7], v[66:67]
	s_wait_loadcnt_dscnt 0x0
	v_lshrrev_b32_e32 v64, 6, v1
.LBB0_5:
	s_wait_xcnt 0x0
	s_or_b32 exec_lo, exec_lo, s1
.LBB0_6:
	s_and_not1_saveexec_b32 s0, s0
	s_cbranch_execz .LBB0_8
; %bb.7:
	flat_load_b64 v[6:7], v[2:3] offset:96
	v_mov_b64_e32 v[24:25], 0
	s_wait_loadcnt_dscnt 0x0
	v_lshlrev_b64_e32 v[64:65], 4, v[6:7]
	v_mov_b64_e32 v[6:7], v[4:5]
.LBB0_8:
	s_wait_xcnt 0x0
	s_or_b32 exec_lo, exec_lo, s0
	s_clause 0x3
	flat_load_b64 v[14:15], v[2:3] offset:104
	flat_load_b128 v[8:11], v[2:3] offset:16
	flat_load_u16 v13, v[2:3] offset:8
	flat_load_b32 v12, v[2:3] offset:4
	v_dual_mov_b32 v1, 0 :: v_dual_mov_b32 v30, 0
	s_mov_b32 s1, 0
	s_mov_b32 s0, exec_lo
	s_wait_loadcnt_dscnt 0x303
	s_wait_xcnt 0x0
	v_and_b32_e32 v2, 0xff, v14
	s_delay_alu instid0(VALU_DEP_1)
	v_cmpx_ne_u16_e32 0, v2
	s_cbranch_execz .LBB0_14
; %bb.9:
	v_bfrev_b32_e32 v30, 1
	s_mov_b32 s2, exec_lo
	v_cmpx_ne_u16_e32 0x80, v2
	s_cbranch_execz .LBB0_13
; %bb.10:
	v_and_b32_e32 v2, 0x7f, v14
	v_mov_b32_e32 v30, 0x7f800001
	s_mov_b32 s3, exec_lo
	s_delay_alu instid0(VALU_DEP_2)
	v_cmpx_ne_u32_e32 0x7f, v2
	s_cbranch_execz .LBB0_12
; %bb.11:
	v_cmp_gt_u32_e32 vcc_lo, 8, v2
	v_and_b32_e32 v3, 7, v14
	s_delay_alu instid0(VALU_DEP_1) | instskip(NEXT) | instid1(VALU_DEP_1)
	v_clz_i32_u32_e32 v3, v3
	v_min_u32_e32 v3, 32, v3
	v_lshrrev_b32_e32 v16, 3, v2
	s_delay_alu instid0(VALU_DEP_2) | instskip(NEXT) | instid1(VALU_DEP_1)
	v_subrev_nc_u32_e32 v17, 28, v3
	v_dual_cndmask_b32 v2, 0, v17 :: v_dual_sub_nc_u32 v3, 29, v3
	s_delay_alu instid0(VALU_DEP_1) | instskip(NEXT) | instid1(VALU_DEP_2)
	v_cndmask_b32_e32 v16, v16, v3, vcc_lo
	v_lshlrev_b64_e32 v[2:3], v2, v[14:15]
	v_lshlrev_b32_e32 v3, 24, v14
	s_delay_alu instid0(VALU_DEP_3) | instskip(NEXT) | instid1(VALU_DEP_2)
	v_lshl_add_u32 v14, v16, 23, 0x3c000000
	v_and_b32_e32 v3, 0x80000000, v3
	s_delay_alu instid0(VALU_DEP_4) | instskip(NEXT) | instid1(VALU_DEP_1)
	v_lshlrev_b32_e32 v2, 20, v2
	v_and_b32_e32 v2, 0x700000, v2
	s_delay_alu instid0(VALU_DEP_1)
	v_or3_b32 v30, v2, v3, v14
.LBB0_12:
	s_or_b32 exec_lo, exec_lo, s3
.LBB0_13:
	s_delay_alu instid0(SALU_CYCLE_1)
	s_or_b32 exec_lo, exec_lo, s2
.LBB0_14:
	s_delay_alu instid0(SALU_CYCLE_1)
	s_or_b32 exec_lo, exec_lo, s0
	s_load_b32 s0, s[8:9], 0x0
	s_bfe_u32 s2, ttmp6, 0x4000c
	s_and_b32 s3, ttmp6, 15
	s_add_co_i32 s2, s2, 1
	s_getreg_b32 s4, hwreg(HW_REG_IB_STS2, 6, 4)
	s_mul_i32 s2, ttmp9, s2
	s_wait_loadcnt_dscnt 0x0
	v_lshrrev_b64 v[14:15], 31, v[12:13]
	s_add_co_i32 s3, s3, s2
	s_cmp_eq_u32 s4, 0
	v_and_b32_e32 v12, 31, v0
	s_cselect_b32 s2, ttmp9, s3
	v_mov_b64_e32 v[26:27], 0
	s_delay_alu instid0(VALU_DEP_3) | instskip(NEXT) | instid1(VALU_DEP_1)
	v_and_b32_e32 v3, 3, v14
	v_and_b32_e32 v13, 0xffff, v3
	s_wait_kmcnt 0x0
	s_cmp_lt_u32 s2, s0
	s_cselect_b32 s0, 12, 18
	s_delay_alu instid0(SALU_CYCLE_1)
	s_add_nc_u64 s[2:3], s[8:9], s[0:1]
	v_cmp_eq_u32_e64 s0, 0, v12
	global_load_u16 v1, v1, s[2:3]
	s_trap 2
	ds_load_b32 v2, v0
	s_wait_dscnt 0x0
	v_cmp_gt_i32_e32 vcc_lo, 0, v2
	s_wait_xcnt 0x0
	v_readfirstlane_b32 s2, v2
	s_cbranch_vccnz .LBB0_16
; %bb.15:
	s_trap 2
	ds_load_b64 v[14:15], v0
	s_mov_b32 s1, 1
	s_wait_dscnt 0x0
	v_readfirstlane_b32 s4, v14
	v_readfirstlane_b32 s5, v15
	flat_load_b64 v[2:3], v2, s[4:5] scale_offset
	s_wait_loadcnt_dscnt 0x0
	v_mad_nc_u64_u32 v[2:3], 0xa8, v13, v[2:3]
	s_clause 0x1
	flat_load_b64 v[32:33], v[2:3] offset:504
	flat_load_b64 v[34:35], v[2:3] offset:608
	v_add_nc_u64_e32 v[28:29], 0x1f8, v[2:3]
	s_wait_xcnt 0x0
	s_delay_alu instid0(VALU_DEP_1)
	v_dual_cndmask_b32 v3, 0, v29, s0 :: v_dual_cndmask_b32 v2, 0, v28, s0
	s_branch .LBB0_17
.LBB0_16:
	v_mov_b64_e32 v[28:29], 0
	v_mov_b64_e32 v[2:3], 0
                                        ; implicit-def: $vgpr34_vgpr35
                                        ; implicit-def: $vgpr32_vgpr33
.LBB0_17:
	s_trap 2
	ds_load_b32 v14, v0
	s_wait_dscnt 0x0
	v_cmp_gt_i32_e32 vcc_lo, 0, v14
	s_cbranch_vccnz .LBB0_19
; %bb.18:
	s_trap 2
	ds_load_b64 v[16:17], v0
	v_cmp_eq_u32_e32 vcc_lo, 0, v12
	s_wait_dscnt 0x0
	v_readfirstlane_b32 s4, v16
	v_readfirstlane_b32 s5, v17
	flat_load_b64 v[14:15], v14, s[4:5] scale_offset
	s_wait_loadcnt_dscnt 0x0
	v_mad_nc_u64_u32 v[26:27], 0xa8, v13, v[14:15]
	s_clause 0x1
	flat_load_b64 v[36:37], v[26:27]
	flat_load_b64 v[16:17], v[26:27] offset:104
	v_dual_cndmask_b32 v53, 0, v27 :: v_dual_cndmask_b32 v52, 0, v26
	s_branch .LBB0_20
.LBB0_19:
	v_mov_b64_e32 v[52:53], 0
                                        ; implicit-def: $vgpr16_vgpr17
                                        ; implicit-def: $vgpr36_vgpr37
.LBB0_20:
	s_wait_xcnt 0x2
	v_subrev_nc_u32_e32 v14, 32, v20
	v_cmp_gt_u32_e32 vcc_lo, s1, v12
	v_mov_b64_e32 v[12:13], 0
	v_mov_b64_e32 v[48:49], 0
                                        ; implicit-def: $vgpr38_vgpr39
	s_delay_alu instid0(VALU_DEP_4)
	v_cmp_ge_i32_e64 s0, v0, v14
	s_and_b32 s9, s0, vcc_lo
	s_wait_xcnt 0x0
	s_and_saveexec_b32 s0, s9
	s_cbranch_execz .LBB0_22
; %bb.21:
	s_clause 0x1
	flat_load_b64 v[48:49], v[2:3] offset:56
	flat_load_b64 v[38:39], v[2:3] offset:104
.LBB0_22:
	s_wait_xcnt 0x0
	s_or_b32 exec_lo, exec_lo, s0
	v_mov_b64_e32 v[50:51], 0
	v_cmp_gt_u32_e64 s0, s1, v0
                                        ; implicit-def: $vgpr54_vgpr55
	s_and_saveexec_b32 s1, s0
	s_cbranch_execz .LBB0_24
; %bb.23:
	flat_load_b64 v[50:51], v[52:53] offset:56
	s_wait_loadcnt_dscnt 0x0
	flat_load_b64 v[54:55], v[50:51] scope:SCOPE_SYS
	s_wait_loadcnt 0x0
	flat_load_b128 v[12:15], v[52:53] offset:96
.LBB0_24:
	s_wait_xcnt 0x0
	s_or_b32 exec_lo, exec_lo, s1
	v_mov_b64_e32 v[52:53], 0
	s_wait_loadcnt 0x0
	v_and_b32_e32 v56, 0xffff, v1
	s_mov_b32 s12, exec_lo
	v_cmpx_ne_u64_e32 0, v[6:7]
	s_cbranch_execnz .LBB0_40
; %bb.25:
	s_or_b32 exec_lo, exec_lo, s12
	s_and_saveexec_b32 s1, s9
	s_cbranch_execnz .LBB0_1290
.LBB0_26:
	s_or_b32 exec_lo, exec_lo, s1
	s_and_saveexec_b32 s1, s0
	s_cbranch_execz .LBB0_28
.LBB0_27:
	s_wait_dscnt 0x0
	flat_store_b64 v[26:27], v[14:15] offset:104
.LBB0_28:
	s_wait_xcnt 0x0
	s_or_b32 exec_lo, exec_lo, s1
	s_delay_alu instid0(SALU_CYCLE_1)
	s_mov_b32 s0, exec_lo
	v_cmpx_ne_u32_e32 32, v20
	s_cbranch_execz .LBB0_1297
; %bb.29:
	s_mov_b32 s1, exec_lo
	v_cmpx_ne_u32_e64 v20, v56
	s_xor_b32 s1, exec_lo, s1
	s_cbranch_execz .LBB0_1295
; %bb.30:
	v_and_b32_e32 v0, 31, v31
	s_mov_b32 s2, exec_lo
	s_delay_alu instid0(VALU_DEP_1)
	v_cmpx_eq_u32_e32 0, v0
	s_cbranch_execz .LBB0_1294
; %bb.31:
	s_mov_b32 s4, exec_lo
	s_mov_b32 s3, exec_lo
	v_mbcnt_lo_u32_b32 v0, s4, 0
	global_wb scope:SCOPE_DEV
	s_wait_storecnt 0x0
	s_wait_loadcnt_dscnt 0x0
	global_inv scope:SCOPE_DEV
	v_cmpx_eq_u32_e32 0, v0
	s_cbranch_execz .LBB0_33
; %bb.32:
	s_bcnt1_i32_b32 s4, s4
	s_delay_alu instid0(SALU_CYCLE_1)
	v_dual_mov_b32 v1, 0 :: v_dual_mov_b32 v0, s4
	s_wait_loadcnt 0x0
	ds_add_u64 v0, v[0:1]
	s_trap 2
.LBB0_33:
	s_or_b32 exec_lo, exec_lo, s3
	s_trap 2
	ds_load_b64 v[2:3], v0
	s_wait_dscnt 0x0
	v_dual_mov_b32 v1, 0 :: v_dual_lshrrev_b32 v0, 5, v20
	s_mov_b32 s3, exec_lo
	s_delay_alu instid0(VALU_DEP_1) | instskip(NEXT) | instid1(VALU_DEP_1)
	v_add_nc_u64_e32 v[0:1], v[52:53], v[0:1]
	v_cmpx_lt_u64_e64 v[2:3], v[0:1]
	s_cbranch_execz .LBB0_1293
; %bb.34:
	s_mov_b32 s4, 0
	s_mov_b32 s7, 0
                                        ; implicit-def: $sgpr5
                                        ; implicit-def: $sgpr6
	s_branch .LBB0_36
.LBB0_35:                               ;   in Loop: Header=BB0_36 Depth=1
	s_or_b32 exec_lo, exec_lo, s9
	s_delay_alu instid0(SALU_CYCLE_1) | instskip(NEXT) | instid1(SALU_CYCLE_1)
	s_and_b32 s8, exec_lo, s10
	s_or_b32 s4, s8, s4
	s_and_not1_b32 s5, s5, exec_lo
	s_and_b32 s8, s6, exec_lo
	s_delay_alu instid0(SALU_CYCLE_1)
	s_or_b32 s5, s5, s8
	s_and_not1_b32 exec_lo, exec_lo, s4
	s_cbranch_execz .LBB0_1291
.LBB0_36:                               ; =>This Inner Loop Header: Depth=1
	s_add_co_i32 s7, s7, 1
	s_delay_alu instid0(SALU_CYCLE_1) | instskip(SKIP_1) | instid1(SALU_CYCLE_1)
	s_cmp_lg_u32 s7, 0x2710
	s_cselect_b32 s8, -1, 0
	s_and_b32 vcc_lo, exec_lo, s8
	s_cbranch_vccz .LBB0_38
; %bb.37:                               ;   in Loop: Header=BB0_36 Depth=1
	s_mov_b32 s10, -1
	s_or_b32 s6, s6, exec_lo
	s_and_saveexec_b32 s9, s8
	s_cbranch_execz .LBB0_35
	s_branch .LBB0_39
.LBB0_38:                               ;   in Loop: Header=BB0_36 Depth=1
	s_trap 2
	ds_load_b64 v[2:3], v0
	s_and_not1_b32 s8, s8, exec_lo
	s_mov_b32 s7, 0
	s_wait_loadcnt_dscnt 0x0
	flat_load_b32 v2, v[2:3] scope:SCOPE_SYS
	s_wait_loadcnt_dscnt 0x0
	global_inv scope:SCOPE_SYS
	v_cmp_eq_u32_e32 vcc_lo, 0, v2
	s_and_b32 s9, vcc_lo, exec_lo
	s_delay_alu instid0(SALU_CYCLE_1)
	s_or_b32 s8, s8, s9
	s_mov_b32 s10, -1
	s_or_b32 s6, s6, exec_lo
	s_and_saveexec_b32 s9, s8
	s_cbranch_execz .LBB0_35
.LBB0_39:                               ;   in Loop: Header=BB0_36 Depth=1
	s_sleep 1
	s_trap 2
	ds_load_b64 v[2:3], v0
	s_wait_dscnt 0x0
	s_and_not1_b32 s6, s6, exec_lo
	v_cmp_ge_u64_e32 vcc_lo, v[2:3], v[0:1]
	s_or_not1_b32 s10, vcc_lo, exec_lo
	s_branch .LBB0_35
.LBB0_40:
	v_add_nc_u64_e32 v[2:3], v[66:67], v[4:5]
	v_dual_mov_b32 v65, 0 :: v_dual_bitop2_b32 v1, 31, v31 bitop3:0x40
	s_ashr_i32 s1, s2, 31
	v_lshlrev_b32_e32 v84, 3, v0
	s_lshr_b32 s1, s1, 29
	s_delay_alu instid0(VALU_DEP_2) | instskip(NEXT) | instid1(VALU_DEP_4)
	v_mov_b32_e32 v85, v65
	v_add_nc_u64_e32 v[68:69], v[2:3], v[18:19]
	v_add_nc_u64_e32 v[2:3], v[24:25], v[10:11]
	v_dual_mov_b32 v21, v65 :: v_dual_lshlrev_b32 v57, 6, v20
	s_add_co_i32 s2, s2, s1
	s_ashr_i32 s11, s10, 31
	v_cmp_eq_u32_e64 s5, 0, v1
	v_dual_mov_b32 v87, v65 :: v_dual_mov_b32 v1, v65
	s_ashr_i32 s4, s2, 3
	s_ashr_i32 s13, s2, 7
	s_lshl_b64 s[2:3], s[10:11], 2
	v_mov_b64_e32 v[80:81], 0
	v_add_nc_u64_e32 v[70:71], s[2:3], v[22:23]
	v_cmp_ne_u64_e64 s1, 0, v[50:51]
	s_wait_dscnt 0x0
	v_cmp_ne_u64_e64 s2, 0, v[12:13]
	v_add_nc_u64_e32 v[96:97], v[10:11], v[84:85]
	v_cmp_ne_u64_e64 s6, 0, v[48:49]
	v_add_nc_u64_e32 v[8:9], v[8:9], v[84:85]
	v_add_nc_u64_e32 v[98:99], v[2:3], v[84:85]
	v_lshlrev_b64_e32 v[102:103], 4, v[20:21]
	v_mov_b64_e32 v[52:53], 0
	v_and_b32_e32 v66, 0x1fffff0, v64
	v_dual_mov_b32 v67, v65 :: v_dual_lshrrev_b32 v82, 5, v20
	s_and_b32 s11, s4, -16
	v_cmp_ne_u32_e64 s3, 32, v20
	v_cmp_ne_u32_e64 s4, v20, v56
	v_dual_mov_b32 v83, v65 :: v_dual_lshlrev_b32 v86, 3, v20
	v_lshl_add_u64 v[100:101], v[0:1], 4, v[36:37]
	v_dual_mov_b32 v1, 1 :: v_dual_mov_b32 v21, 0
	s_cmp_gt_i32 s10, 2
	s_mov_b32 s14, 0
	s_cselect_b32 s15, -1, 0
	s_branch .LBB0_42
.LBB0_41:                               ;   in Loop: Header=BB0_42 Depth=1
	s_wait_xcnt 0x0
	s_or_b32 exec_lo, exec_lo, s7
	v_add_nc_u64_e32 v[80:81], v[80:81], v[66:67]
	v_add_nc_u64_e32 v[34:35], 1, v[34:35]
	;; [unrolled: 1-line block ×3, first 2 shown]
	s_delay_alu instid0(VALU_DEP_3) | instskip(SKIP_1) | instid1(SALU_CYCLE_1)
	v_cmp_ge_u64_e32 vcc_lo, v[80:81], v[6:7]
	s_or_b32 s14, vcc_lo, s14
	s_and_not1_b32 exec_lo, exec_lo, s14
	s_cbranch_execz .LBB0_1289
.LBB0_42:                               ; =>This Loop Header: Depth=1
                                        ;     Child Loop BB0_47 Depth 2
                                        ;     Child Loop BB0_66 Depth 2
	;; [unrolled: 1-line block ×5, first 2 shown]
                                        ;       Child Loop BB0_284 Depth 3
                                        ;       Child Loop BB0_303 Depth 3
                                        ;       Child Loop BB0_323 Depth 3
                                        ;         Child Loop BB0_331 Depth 4
                                        ;       Child Loop BB0_783 Depth 3
                                        ;       Child Loop BB0_320 Depth 3
                                        ;     Child Loop BB0_799 Depth 2
                                        ;       Child Loop BB0_807 Depth 3
                                        ;     Child Loop BB0_1277 Depth 2
	flat_load_b32 v114, v[70:71] offset:-4
	v_sub_nc_u64_e32 v[2:3], v[6:7], v[80:81]
	s_delay_alu instid0(VALU_DEP_1) | instskip(NEXT) | instid1(VALU_DEP_1)
	v_min_u64 v[2:3], v[66:67], v[2:3]
	v_lshl_add_u32 v3, v2, 1, 14
	s_delay_alu instid0(VALU_DEP_1)
	v_and_b32_e32 v59, 0x7fffff0, v3
	s_wait_xcnt 0x0
	s_and_saveexec_b32 s8, s1
	s_cbranch_execz .LBB0_58
; %bb.43:                               ;   in Loop: Header=BB0_42 Depth=1
	v_add_nc_u64_e32 v[4:5], 1, v[14:15]
	v_add_nc_u64_e32 v[18:19], 8, v[54:55]
	s_mov_b32 s16, exec_lo
	s_delay_alu instid0(VALU_DEP_1)
	v_cmpx_lt_u64_e64 v[18:19], v[4:5]
	s_cbranch_execz .LBB0_55
; %bb.44:                               ;   in Loop: Header=BB0_42 Depth=1
	s_mov_b32 s17, 0
	s_mov_b32 s21, 0
	v_cmp_eq_u32_e32 vcc_lo, 0, v21
                                        ; implicit-def: $sgpr18
                                        ; implicit-def: $sgpr19
                                        ; implicit-def: $sgpr20
	s_branch .LBB0_47
.LBB0_45:                               ;   in Loop: Header=BB0_47 Depth=2
	s_or_b32 exec_lo, exec_lo, s26
	s_delay_alu instid0(SALU_CYCLE_1)
	s_and_not1_b32 s7, s20, exec_lo
	s_and_b32 s20, s24, exec_lo
	s_and_not1_b32 s19, s19, exec_lo
	s_and_b32 s23, s23, exec_lo
	s_or_b32 s20, s7, s20
	s_or_b32 s19, s19, s23
.LBB0_46:                               ;   in Loop: Header=BB0_47 Depth=2
	s_or_b32 exec_lo, exec_lo, s22
	s_delay_alu instid0(SALU_CYCLE_1) | instskip(NEXT) | instid1(SALU_CYCLE_1)
	s_and_b32 s7, exec_lo, s19
	s_or_b32 s17, s7, s17
	s_and_not1_b32 s7, s18, exec_lo
	s_and_b32 s18, s20, exec_lo
	s_delay_alu instid0(SALU_CYCLE_1)
	s_or_b32 s18, s7, s18
	s_and_not1_b32 exec_lo, exec_lo, s17
	s_cbranch_execz .LBB0_52
.LBB0_47:                               ;   Parent Loop BB0_42 Depth=1
                                        ; =>  This Inner Loop Header: Depth=2
	s_sleep 1
	s_wait_loadcnt_dscnt 0x0
	flat_load_b64 v[54:55], v[50:51] scope:SCOPE_DEV
	v_mov_b32_e32 v21, 1
	s_or_b32 s20, s20, exec_lo
	s_or_b32 s19, s19, exec_lo
                                        ; implicit-def: $vgpr3
	s_wait_xcnt 0x0
	s_and_saveexec_b32 s22, vcc_lo
	s_cbranch_execz .LBB0_46
; %bb.48:                               ;   in Loop: Header=BB0_47 Depth=2
	s_add_co_i32 s21, s21, 1
	s_mov_b32 s23, -1
	s_cmp_lg_u32 s21, 0x2710
	s_mov_b32 s24, -1
	s_cselect_b32 s25, -1, 0
	s_cmp_eq_u32 s21, 0x2710
                                        ; implicit-def: $vgpr3
	s_cbranch_scc1 .LBB0_50
; %bb.49:                               ;   in Loop: Header=BB0_47 Depth=2
	v_mov_b32_e32 v21, 1
	s_and_saveexec_b32 s26, s25
	s_cbranch_execz .LBB0_45
	s_branch .LBB0_51
.LBB0_50:                               ;   in Loop: Header=BB0_47 Depth=2
	s_trap 2
	ds_load_b64 v[18:19], v0
	s_and_not1_b32 s21, s25, exec_lo
	s_mov_b32 s24, 0
	s_wait_storecnt 0x0
	s_wait_loadcnt_dscnt 0x0
	flat_load_b32 v3, v[18:19] scope:SCOPE_SYS
	s_wait_loadcnt_dscnt 0x0
	global_inv scope:SCOPE_SYS
	v_cmp_eq_u32_e64 s7, 0, v3
	s_and_b32 s7, s7, exec_lo
	s_delay_alu instid0(SALU_CYCLE_1)
	s_or_b32 s25, s21, s7
	s_mov_b32 s21, 0
	v_mov_b32_e32 v21, 1
	s_and_saveexec_b32 s26, s25
	s_cbranch_execz .LBB0_45
.LBB0_51:                               ;   in Loop: Header=BB0_47 Depth=2
	s_wait_loadcnt_dscnt 0x0
	v_add_nc_u64_e32 v[18:19], 8, v[54:55]
	v_mov_b32_e32 v21, 0
	s_or_b32 s24, s24, exec_lo
	s_delay_alu instid0(VALU_DEP_2)
	v_cmp_ge_u64_e64 s7, v[18:19], v[4:5]
	s_or_not1_b32 s23, s7, exec_lo
	s_branch .LBB0_45
.LBB0_52:                               ;   in Loop: Header=BB0_42 Depth=1
	s_or_b32 exec_lo, exec_lo, s17
	s_xor_b32 s7, s18, -1
	s_delay_alu instid0(SALU_CYCLE_1) | instskip(NEXT) | instid1(SALU_CYCLE_1)
	s_and_saveexec_b32 s17, s7
	s_xor_b32 s7, exec_lo, s17
	s_cbranch_execz .LBB0_54
; %bb.53:                               ;   in Loop: Header=BB0_42 Depth=1
	v_mov_b32_e32 v21, 1
	s_wait_storecnt 0x0
	s_wait_loadcnt_dscnt 0x0
	ds_store_b32 v0, v3
	s_trap 2
.LBB0_54:                               ;   in Loop: Header=BB0_42 Depth=1
	s_or_b32 exec_lo, exec_lo, s7
.LBB0_55:                               ;   in Loop: Header=BB0_42 Depth=1
	s_delay_alu instid0(SALU_CYCLE_1)
	s_or_b32 exec_lo, exec_lo, s16
	s_and_saveexec_b32 s7, s2
	s_cbranch_execz .LBB0_57
; %bb.56:                               ;   in Loop: Header=BB0_42 Depth=1
	v_and_b32_e32 v64, 0x7ffffff8, v14
	v_and_b32_e32 v3, 7, v14
	s_delay_alu instid0(VALU_DEP_2) | instskip(NEXT) | instid1(VALU_DEP_2)
	v_cmp_eq_u64_e32 vcc_lo, 0x7ffffff8, v[64:65]
	v_mad_nc_u64_u32 v[14:15], v3, 24, v[12:13]
	v_cndmask_b32_e64 v18, v59, s11, vcc_lo
	s_delay_alu instid0(VALU_DEP_1)
	v_ashrrev_i32_e32 v19, 31, v18
	flat_store_b64 v[14:15], v[18:19] offset:8 scope:SCOPE_SYS
	s_wait_storecnt 0x0
.LBB0_57:                               ;   in Loop: Header=BB0_42 Depth=1
	s_wait_xcnt 0x0
	s_or_b32 exec_lo, exec_lo, s7
	v_mov_b64_e32 v[14:15], v[4:5]
.LBB0_58:                               ;   in Loop: Header=BB0_42 Depth=1
	s_or_b32 exec_lo, exec_lo, s8
	s_and_saveexec_b32 s7, s3
	s_cbranch_execz .LBB0_77
; %bb.59:                               ;   in Loop: Header=BB0_42 Depth=1
	s_and_saveexec_b32 s8, s4
	s_delay_alu instid0(SALU_CYCLE_1)
	s_xor_b32 s8, exec_lo, s8
	s_cbranch_execz .LBB0_74
; %bb.60:                               ;   in Loop: Header=BB0_42 Depth=1
	s_and_saveexec_b32 s16, s5
	s_cbranch_execz .LBB0_73
; %bb.61:                               ;   in Loop: Header=BB0_42 Depth=1
	s_mov_b32 s18, exec_lo
	s_mov_b32 s17, exec_lo
	v_mbcnt_lo_u32_b32 v3, s18, 0
	global_wb scope:SCOPE_DEV
	s_wait_storecnt 0x0
	s_wait_loadcnt_dscnt 0x0
	global_inv scope:SCOPE_DEV
	v_cmpx_eq_u32_e32 0, v3
	s_cbranch_execz .LBB0_63
; %bb.62:                               ;   in Loop: Header=BB0_42 Depth=1
	s_bcnt1_i32_b32 s18, s18
	s_delay_alu instid0(SALU_CYCLE_1)
	v_mov_b32_e32 v64, s18
	s_wait_loadcnt 0x0
	ds_add_u64 v0, v[64:65]
	s_trap 2
.LBB0_63:                               ;   in Loop: Header=BB0_42 Depth=1
	s_or_b32 exec_lo, exec_lo, s17
	s_trap 2
	ds_load_b64 v[4:5], v0
	s_wait_dscnt 0x0
	v_add_nc_u64_e32 v[52:53], v[52:53], v[82:83]
	s_mov_b32 s17, exec_lo
	s_delay_alu instid0(VALU_DEP_1)
	v_cmpx_lt_u64_e64 v[4:5], v[52:53]
	s_cbranch_execz .LBB0_72
; %bb.64:                               ;   in Loop: Header=BB0_42 Depth=1
	s_mov_b32 s18, 0
	s_mov_b32 s21, 0
                                        ; implicit-def: $sgpr19
                                        ; implicit-def: $sgpr20
	s_branch .LBB0_66
.LBB0_65:                               ;   in Loop: Header=BB0_66 Depth=2
	s_or_b32 exec_lo, exec_lo, s23
	s_delay_alu instid0(SALU_CYCLE_1) | instskip(NEXT) | instid1(SALU_CYCLE_1)
	s_and_b32 s22, exec_lo, s24
	s_or_b32 s18, s22, s18
	s_and_not1_b32 s19, s19, exec_lo
	s_and_b32 s22, s20, exec_lo
	s_delay_alu instid0(SALU_CYCLE_1)
	s_or_b32 s19, s19, s22
	s_and_not1_b32 exec_lo, exec_lo, s18
	s_cbranch_execz .LBB0_70
.LBB0_66:                               ;   Parent Loop BB0_42 Depth=1
                                        ; =>  This Inner Loop Header: Depth=2
	s_add_co_i32 s21, s21, 1
	s_delay_alu instid0(SALU_CYCLE_1) | instskip(SKIP_1) | instid1(SALU_CYCLE_1)
	s_cmp_lg_u32 s21, 0x2710
	s_cselect_b32 s22, -1, 0
	s_and_b32 vcc_lo, exec_lo, s22
	s_cbranch_vccz .LBB0_68
; %bb.67:                               ;   in Loop: Header=BB0_66 Depth=2
	s_mov_b32 s24, -1
	s_or_b32 s20, s20, exec_lo
	s_and_saveexec_b32 s23, s22
	s_cbranch_execz .LBB0_65
	s_branch .LBB0_69
.LBB0_68:                               ;   in Loop: Header=BB0_66 Depth=2
	s_trap 2
	ds_load_b64 v[4:5], v0
	s_and_not1_b32 s22, s22, exec_lo
	s_mov_b32 s21, 0
	s_wait_loadcnt_dscnt 0x0
	flat_load_b32 v3, v[4:5] scope:SCOPE_SYS
	s_wait_loadcnt_dscnt 0x0
	global_inv scope:SCOPE_SYS
	v_cmp_eq_u32_e32 vcc_lo, 0, v3
	s_and_b32 s23, vcc_lo, exec_lo
	s_delay_alu instid0(SALU_CYCLE_1)
	s_or_b32 s22, s22, s23
	s_mov_b32 s24, -1
	s_or_b32 s20, s20, exec_lo
	s_and_saveexec_b32 s23, s22
	s_cbranch_execz .LBB0_65
.LBB0_69:                               ;   in Loop: Header=BB0_66 Depth=2
	s_sleep 1
	s_trap 2
	ds_load_b64 v[4:5], v0
	s_wait_dscnt 0x0
	s_and_not1_b32 s20, s20, exec_lo
	v_cmp_ge_u64_e32 vcc_lo, v[4:5], v[52:53]
	s_or_not1_b32 s24, vcc_lo, exec_lo
	s_branch .LBB0_65
.LBB0_70:                               ;   in Loop: Header=BB0_42 Depth=1
	s_or_b32 exec_lo, exec_lo, s18
	s_and_saveexec_b32 s18, s19
	s_delay_alu instid0(SALU_CYCLE_1)
	s_xor_b32 s18, exec_lo, s18
	s_cbranch_execz .LBB0_72
; %bb.71:                               ;   in Loop: Header=BB0_42 Depth=1
	ds_store_b32 v0, v1
	s_trap 2
.LBB0_72:                               ;   in Loop: Header=BB0_42 Depth=1
	s_or_b32 exec_lo, exec_lo, s17
	;;#ASMSTART
	s_wakeup
	;;#ASMEND
.LBB0_73:                               ;   in Loop: Header=BB0_42 Depth=1
	s_or_b32 exec_lo, exec_lo, s16
.LBB0_74:                               ;   in Loop: Header=BB0_42 Depth=1
	s_and_not1_saveexec_b32 s8, s8
	s_cbranch_execz .LBB0_76
; %bb.75:                               ;   in Loop: Header=BB0_42 Depth=1
	global_wb scope:SCOPE_DEV
	s_wait_storecnt 0x0
	s_wait_loadcnt_dscnt 0x0
	global_inv scope:SCOPE_DEV
	s_barrier_signal -1
	s_barrier_wait -1
.LBB0_76:                               ;   in Loop: Header=BB0_42 Depth=1
	s_or_b32 exec_lo, exec_lo, s8
.LBB0_77:                               ;   in Loop: Header=BB0_42 Depth=1
	s_delay_alu instid0(SALU_CYCLE_1) | instskip(SKIP_2) | instid1(VALU_DEP_2)
	s_or_b32 exec_lo, exec_lo, s7
	v_dual_sub_nc_u32 v58, v2, v84 :: v_dual_mov_b32 v18, v0
	v_dual_add_nc_u32 v3, 1, v16 :: v_dual_bitop2_b32 v19, 7, v16 bitop3:0x40
	v_cmp_lt_i32_e64 s7, 0, v58
	s_and_saveexec_b32 s16, s7
	s_cbranch_execz .LBB0_273
; %bb.78:                               ;   in Loop: Header=BB0_42 Depth=1
	s_wait_loadcnt_dscnt 0x0
	v_mad_nc_u64_u32 v[112:113], v68, v114, v[98:99]
	v_mul_lo_u32 v4, v19, s13
	v_mul_lo_u32 v18, v68, v114
	v_dual_mov_b32 v119, v58 :: v_dual_ashrrev_i32 v64, 31, v114
	s_mov_b32 s17, 0
	s_delay_alu instid0(VALU_DEP_4) | instskip(NEXT) | instid1(VALU_DEP_4)
	v_mad_u32 v2, v69, v114, v113
	v_ashrrev_i32_e32 v5, 31, v4
	s_delay_alu instid0(VALU_DEP_4) | instskip(SKIP_1) | instid1(VALU_DEP_3)
	v_add_lshl_u32 v118, v98, v18, 3
	v_mov_b32_e32 v18, v0
	v_lshl_add_u64 v[114:115], v[4:5], 4, v[100:101]
	v_mad_u32 v113, v68, v64, v2
	s_branch .LBB0_80
.LBB0_79:                               ;   in Loop: Header=BB0_80 Depth=2
	s_or_b32 exec_lo, exec_lo, s8
	v_dual_lshlrev_b32 v5, 8, v40 :: v_dual_lshlrev_b32 v64, 16, v41
	v_dual_lshlrev_b32 v116, 8, v44 :: v_dual_lshlrev_b32 v117, 16, v45
	;; [unrolled: 1-line block ×3, first 2 shown]
	s_delay_alu instid0(VALU_DEP_3) | instskip(SKIP_1) | instid1(VALU_DEP_4)
	v_or3_b32 v2, v5, v2, v64
	v_dual_mov_b32 v5, v3 :: v_dual_add_nc_u32 v18, v18, v20
	v_or3_b32 v64, v116, v43, v117
	v_dual_sub_nc_u32 v119, v119, v86 :: v_dual_add_nc_u32 v118, v118, v57
	s_delay_alu instid0(VALU_DEP_4) | instskip(SKIP_1) | instid1(VALU_DEP_4)
	v_or3_b32 v2, v2, v40, 0
	v_add_nc_u64_e32 v[112:113], v[112:113], v[86:87]
	v_or3_b32 v4, v64, v4, 0
	s_delay_alu instid0(VALU_DEP_4) | instskip(SKIP_4) | instid1(SALU_CYCLE_1)
	v_cmp_gt_i32_e32 vcc_lo, 1, v119
	global_store_b128 v[114:115], v[2:5], off
	s_wait_xcnt 0x0
	v_add_nc_u64_e32 v[114:115], v[114:115], v[102:103]
	s_or_b32 s17, vcc_lo, s17
	s_and_not1_b32 exec_lo, exec_lo, s17
	s_cbranch_execz .LBB0_272
.LBB0_80:                               ;   Parent Loop BB0_42 Depth=1
                                        ; =>  This Inner Loop Header: Depth=2
	s_delay_alu instid0(VALU_DEP_1)
	v_dual_mov_b32 v5, v113 :: v_dual_bitop2_b32 v4, -4, v112 bitop3:0x40
	v_min_u32_e32 v64, 8, v119
	v_dual_mov_b32 v43, 0 :: v_dual_bitop2_b32 v116, 3, v112 bitop3:0x40
	v_mov_b32_e32 v44, 0
	global_load_b32 v2, v[4:5], off th:TH_LOAD_NT
	s_mov_b32 s8, exec_lo
	v_add_nc_u32_e32 v64, v116, v64
	s_wait_xcnt 0x0
	s_delay_alu instid0(VALU_DEP_1)
	v_cmpx_lt_u32_e32 4, v64
	s_cbranch_execz .LBB0_82
; %bb.81:                               ;   in Loop: Header=BB0_80 Depth=2
	global_load_b32 v44, v[4:5], off offset:4 th:TH_LOAD_NT
.LBB0_82:                               ;   in Loop: Header=BB0_80 Depth=2
	s_wait_xcnt 0x0
	s_or_b32 exec_lo, exec_lo, s8
	s_delay_alu instid0(SALU_CYCLE_1)
	s_mov_b32 s8, exec_lo
	v_cmpx_lt_u64_e32 8, v[64:65]
	s_cbranch_execz .LBB0_84
; %bb.83:                               ;   in Loop: Header=BB0_80 Depth=2
	global_load_b32 v43, v[4:5], off offset:8 th:TH_LOAD_NT
.LBB0_84:                               ;   in Loop: Header=BB0_80 Depth=2
	s_wait_xcnt 0x0
	s_or_b32 exec_lo, exec_lo, s8
	s_wait_loadcnt 0x0
	v_alignbit_b32 v64, v44, v2, v118
	v_mov_b32_e32 v2, 0
	s_mov_b32 s8, exec_lo
	s_delay_alu instid0(VALU_DEP_2) | instskip(NEXT) | instid1(VALU_DEP_1)
	v_and_b32_e32 v4, 0xff, v64
	v_cmpx_ne_u16_e32 0, v4
	s_cbranch_execz .LBB0_90
; %bb.85:                               ;   in Loop: Header=BB0_80 Depth=2
	v_bfrev_b32_e32 v2, 1
	s_mov_b32 s18, exec_lo
	v_cmpx_ne_u16_e32 0x80, v4
	s_cbranch_execz .LBB0_89
; %bb.86:                               ;   in Loop: Header=BB0_80 Depth=2
	v_and_b32_e32 v4, 0x7f, v64
	v_mov_b32_e32 v2, 0x7f800001
	s_mov_b32 s19, exec_lo
	s_delay_alu instid0(VALU_DEP_2)
	v_cmpx_ne_u32_e32 0x7f, v4
	s_cbranch_execz .LBB0_88
; %bb.87:                               ;   in Loop: Header=BB0_80 Depth=2
	v_and_b32_e32 v2, 7, v64
	v_cmp_gt_u32_e32 vcc_lo, 8, v4
	s_delay_alu instid0(VALU_DEP_2) | instskip(NEXT) | instid1(VALU_DEP_1)
	v_clz_i32_u32_e32 v2, v2
	v_min_u32_e32 v2, 32, v2
	v_lshrrev_b32_e32 v5, 3, v4
	s_delay_alu instid0(VALU_DEP_2) | instskip(NEXT) | instid1(VALU_DEP_1)
	v_subrev_nc_u32_e32 v116, 28, v2
	v_dual_sub_nc_u32 v2, 29, v2 :: v_dual_cndmask_b32 v4, 0, v116, vcc_lo
	s_delay_alu instid0(VALU_DEP_1) | instskip(NEXT) | instid1(VALU_DEP_2)
	v_cndmask_b32_e32 v2, v5, v2, vcc_lo
	v_lshlrev_b64_e32 v[4:5], v4, v[64:65]
	v_lshlrev_b32_e32 v5, 24, v64
	s_delay_alu instid0(VALU_DEP_3) | instskip(NEXT) | instid1(VALU_DEP_2)
	v_lshl_add_u32 v2, v2, 23, 0x3c000000
	v_and_b32_e32 v5, 0x80000000, v5
	s_delay_alu instid0(VALU_DEP_4) | instskip(NEXT) | instid1(VALU_DEP_1)
	v_lshlrev_b32_e32 v4, 20, v4
	v_and_b32_e32 v4, 0x700000, v4
	s_delay_alu instid0(VALU_DEP_1)
	v_or3_b32 v2, v4, v5, v2
.LBB0_88:                               ;   in Loop: Header=BB0_80 Depth=2
	s_or_b32 exec_lo, exec_lo, s19
.LBB0_89:                               ;   in Loop: Header=BB0_80 Depth=2
	s_delay_alu instid0(SALU_CYCLE_1)
	s_or_b32 exec_lo, exec_lo, s18
.LBB0_90:                               ;   in Loop: Header=BB0_80 Depth=2
	s_delay_alu instid0(SALU_CYCLE_1) | instskip(NEXT) | instid1(VALU_DEP_1)
	s_or_b32 exec_lo, exec_lo, s8
	v_dual_mul_f32 v4, v30, v2 :: v_dual_mov_b32 v117, v65
                                        ; implicit-def: $vgpr2
	s_mov_b32 s8, exec_lo
	s_delay_alu instid0(VALU_DEP_1) | instskip(SKIP_1) | instid1(VALU_DEP_2)
	v_and_b32_e32 v116, 0x7f800000, v4
	v_lshrrev_b32_e32 v5, 24, v4
	v_cmpx_ne_u64_e32 0x7f800000, v[116:117]
	s_xor_b32 s18, exec_lo, s8
	s_cbranch_execz .LBB0_104
; %bb.91:                               ;   in Loop: Header=BB0_80 Depth=2
	v_and_b32_e32 v116, 0x7fffffff, v4
	v_mov_b32_e32 v117, v65
	v_and_b32_e32 v40, 0x80, v5
                                        ; implicit-def: $vgpr2
	s_mov_b32 s8, exec_lo
	s_delay_alu instid0(VALU_DEP_2)
	v_cmpx_gt_u64_e32 0x43e00001, v[116:117]
	s_xor_b32 s19, exec_lo, s8
	s_cbranch_execz .LBB0_101
; %bb.92:                               ;   in Loop: Header=BB0_80 Depth=2
	v_mov_b32_e32 v2, 0
	s_mov_b32 s20, exec_lo
	v_cmpx_ne_u32_e32 0, v4
	s_cbranch_execz .LBB0_100
; %bb.93:                               ;   in Loop: Header=BB0_80 Depth=2
	v_bfe_u32 v2, v4, 23, 8
	v_and_b32_e32 v116, 0x7fffff, v4
	s_mov_b32 s21, exec_lo
	s_delay_alu instid0(VALU_DEP_2) | instskip(NEXT) | instid1(VALU_DEP_2)
	v_cmp_gt_u32_e32 vcc_lo, 0x7a, v2
	v_or_b32_e32 v117, 0x800000, v116
	v_sub_nc_u32_e32 v5, 0x79, v2
	s_delay_alu instid0(VALU_DEP_1) | instskip(SKIP_1) | instid1(VALU_DEP_4)
	v_cndmask_b32_e32 v5, 0, v5, vcc_lo
	v_cmp_eq_u32_e32 vcc_lo, 0, v2
	v_cndmask_b32_e32 v116, v117, v116, vcc_lo
	v_mov_b32_e32 v117, v65
	s_delay_alu instid0(VALU_DEP_4) | instskip(NEXT) | instid1(VALU_DEP_1)
	v_cndmask_b32_e64 v41, v5, 0x78, vcc_lo
	v_dual_add_nc_u32 v4, 20, v41 :: v_dual_add_nc_u32 v42, 19, v41
	s_delay_alu instid0(VALU_DEP_1) | instskip(NEXT) | instid1(VALU_DEP_2)
	v_lshlrev_b64_e64 v[4:5], v4, -1
	v_lshlrev_b64_e64 v[46:47], v42, 1
	s_delay_alu instid0(VALU_DEP_2) | instskip(NEXT) | instid1(VALU_DEP_3)
	v_bfi_b32 v61, v5, 0, 0
	v_bfi_b32 v60, v4, 0, v116
	v_lshrrev_b64 v[4:5], v41, v[116:117]
	s_delay_alu instid0(VALU_DEP_1) | instskip(NEXT) | instid1(VALU_DEP_3)
	v_mov_b64_e32 v[116:117], v[4:5]
	v_cmpx_eq_u64_e64 v[60:61], v[46:47]
; %bb.94:                               ;   in Loop: Header=BB0_80 Depth=2
	v_bfe_u32 v116, v4, 20, 1
	v_mov_b32_e32 v117, v65
	s_delay_alu instid0(VALU_DEP_1) | instskip(NEXT) | instid1(VALU_DEP_1)
	v_add_nc_u64_e32 v[116:117], v[4:5], v[116:117]
	v_add_nc_u64_e32 v[116:117], -1, v[116:117]
; %bb.95:                               ;   in Loop: Header=BB0_80 Depth=2
	s_or_b32 exec_lo, exec_lo, s21
	v_add_nc_u32_e32 v2, 0xffffff81, v2
	v_lshrrev_b32_e32 v5, 23, v4
	s_mov_b32 s8, exec_lo
	s_delay_alu instid0(VALU_DEP_2) | instskip(NEXT) | instid1(VALU_DEP_1)
	v_cndmask_b32_e64 v2, v2, 0xffffff82, vcc_lo
	v_add3_u32 v117, v41, v2, v5
	v_and_b32_e32 v2, 0xfffff, v116
	s_delay_alu instid0(VALU_DEP_2) | instskip(NEXT) | instid1(VALU_DEP_2)
	v_dual_mov_b32 v5, v65 :: v_dual_add_nc_u32 v116, 6, v117
	v_add_nc_u32_e32 v4, v2, v4
                                        ; implicit-def: $vgpr2
	s_delay_alu instid0(VALU_DEP_2)
	v_cmpx_ne_u32_e32 0, v116
	s_xor_b32 s8, exec_lo, s8
; %bb.96:                               ;   in Loop: Header=BB0_80 Depth=2
	s_delay_alu instid0(VALU_DEP_2) | instskip(SKIP_1) | instid1(VALU_DEP_1)
	v_cmp_lt_u64_e32 vcc_lo, 0xffffff, v[4:5]
	v_add_nc_u32_e32 v2, 7, v117
	v_cndmask_b32_e32 v2, v116, v2, vcc_lo
	v_cndmask_b32_e64 v116, 0, 1, vcc_lo
	s_delay_alu instid0(VALU_DEP_1)
	v_lshrrev_b64 v[4:5], v116, v[4:5]
; %bb.97:                               ;   in Loop: Header=BB0_80 Depth=2
	s_and_not1_saveexec_b32 s8, s8
; %bb.98:                               ;   in Loop: Header=BB0_80 Depth=2
	s_delay_alu instid0(VALU_DEP_1)
	v_bfe_u32 v2, v4, 23, 1
; %bb.99:                               ;   in Loop: Header=BB0_80 Depth=2
	s_or_b32 exec_lo, exec_lo, s8
	s_delay_alu instid0(VALU_DEP_2) | instskip(NEXT) | instid1(VALU_DEP_2)
	v_lshrrev_b64 v[4:5], 20, v[4:5]
	v_cmp_gt_i32_e32 vcc_lo, 16, v2
	v_min_i32_e32 v116, 15, v2
	v_cmp_eq_u32_e64 s8, 0, v2
	s_delay_alu instid0(VALU_DEP_2) | instskip(SKIP_1) | instid1(VALU_DEP_2)
	v_dual_cndmask_b32 v5, 0, v5 :: v_dual_lshlrev_b32 v116, 3, v116
	v_cndmask_b32_e32 v4, 7, v4, vcc_lo
	v_and_b32_e32 v116, 0xf8, v116
	s_delay_alu instid0(VALU_DEP_2) | instskip(NEXT) | instid1(VALU_DEP_2)
	v_cmp_eq_u64_e32 vcc_lo, 0, v[4:5]
	v_and_or_b32 v2, v4, 7, v116
	s_and_b32 s8, s8, vcc_lo
	s_delay_alu instid0(VALU_DEP_1) | instid1(SALU_CYCLE_1)
	v_cndmask_b32_e64 v2, v2, 0, s8
	s_delay_alu instid0(VALU_DEP_1)
	v_or_b32_e32 v2, v2, v40
.LBB0_100:                              ;   in Loop: Header=BB0_80 Depth=2
	s_or_b32 exec_lo, exec_lo, s20
                                        ; implicit-def: $vgpr40
.LBB0_101:                              ;   in Loop: Header=BB0_80 Depth=2
	s_and_not1_saveexec_b32 s8, s19
; %bb.102:                              ;   in Loop: Header=BB0_80 Depth=2
	v_or_b32_e32 v2, 0x7e, v40
; %bb.103:                              ;   in Loop: Header=BB0_80 Depth=2
	s_or_b32 exec_lo, exec_lo, s8
                                        ; implicit-def: $vgpr5
.LBB0_104:                              ;   in Loop: Header=BB0_80 Depth=2
	s_and_not1_saveexec_b32 s8, s18
; %bb.105:                              ;   in Loop: Header=BB0_80 Depth=2
	v_or_b32_e32 v2, 0x7f, v5
; %bb.106:                              ;   in Loop: Header=BB0_80 Depth=2
	s_or_b32 exec_lo, exec_lo, s8
	v_lshrrev_b16 v5, 8, v64
	v_mov_b32_e32 v4, 0
	s_mov_b32 s8, exec_lo
	s_delay_alu instid0(VALU_DEP_2)
	v_cmpx_ne_u16_e32 0, v5
	s_cbranch_execz .LBB0_114
; %bb.107:                              ;   in Loop: Header=BB0_80 Depth=2
	v_bfrev_b32_e32 v4, 1
	s_mov_b32 s18, exec_lo
	v_cmpx_ne_u16_e32 0x80, v5
	s_cbranch_execz .LBB0_113
; %bb.108:                              ;   in Loop: Header=BB0_80 Depth=2
	v_and_b32_e32 v5, 0xffff, v5
	v_mov_b32_e32 v4, 0x7f800001
	s_mov_b32 s19, exec_lo
	s_delay_alu instid0(VALU_DEP_2) | instskip(NEXT) | instid1(VALU_DEP_1)
	v_and_b32_e32 v117, 0x7f, v5
	v_cmpx_ne_u32_e32 0x7f, v117
	s_cbranch_execz .LBB0_112
; %bb.109:                              ;   in Loop: Header=BB0_80 Depth=2
	v_dual_mov_b32 v5, v65 :: v_dual_bitop2_b32 v4, 7, v5 bitop3:0x40
	v_lshrrev_b32_e32 v116, 3, v117
	s_mov_b32 s20, exec_lo
	v_cmpx_gt_u32_e32 8, v117
; %bb.110:                              ;   in Loop: Header=BB0_80 Depth=2
	s_delay_alu instid0(VALU_DEP_3) | instskip(NEXT) | instid1(VALU_DEP_1)
	v_clz_i32_u32_e32 v116, v4
	v_min_u32_e32 v116, 32, v116
	s_delay_alu instid0(VALU_DEP_1) | instskip(SKIP_1) | instid1(VALU_DEP_2)
	v_subrev_nc_u32_e32 v117, 28, v116
	v_sub_nc_u32_e32 v116, 29, v116
	v_lshlrev_b64_e32 v[4:5], v117, v[4:5]
	s_delay_alu instid0(VALU_DEP_1)
	v_and_b32_e32 v4, 7, v4
; %bb.111:                              ;   in Loop: Header=BB0_80 Depth=2
	s_or_b32 exec_lo, exec_lo, s20
	v_lshlrev_b32_e32 v5, 16, v64
	s_delay_alu instid0(VALU_DEP_2) | instskip(SKIP_1) | instid1(VALU_DEP_3)
	v_lshlrev_b32_e32 v4, 20, v4
	v_lshl_add_u32 v116, v116, 23, 0x3c000000
	v_and_b32_e32 v5, 0x80000000, v5
	s_delay_alu instid0(VALU_DEP_1)
	v_or3_b32 v4, v4, v5, v116
.LBB0_112:                              ;   in Loop: Header=BB0_80 Depth=2
	s_or_b32 exec_lo, exec_lo, s19
.LBB0_113:                              ;   in Loop: Header=BB0_80 Depth=2
	s_delay_alu instid0(SALU_CYCLE_1)
	s_or_b32 exec_lo, exec_lo, s18
.LBB0_114:                              ;   in Loop: Header=BB0_80 Depth=2
	s_delay_alu instid0(SALU_CYCLE_1) | instskip(NEXT) | instid1(VALU_DEP_1)
	s_or_b32 exec_lo, exec_lo, s8
	v_dual_mul_f32 v4, v30, v4 :: v_dual_mov_b32 v117, v65
                                        ; implicit-def: $vgpr40
	s_mov_b32 s8, exec_lo
	s_delay_alu instid0(VALU_DEP_1) | instskip(SKIP_1) | instid1(VALU_DEP_2)
	v_and_b32_e32 v116, 0x7f800000, v4
	v_lshrrev_b32_e32 v5, 24, v4
	v_cmpx_ne_u64_e32 0x7f800000, v[116:117]
	s_xor_b32 s18, exec_lo, s8
	s_cbranch_execz .LBB0_128
; %bb.115:                              ;   in Loop: Header=BB0_80 Depth=2
	v_and_b32_e32 v116, 0x7fffffff, v4
	v_mov_b32_e32 v117, v65
	v_and_b32_e32 v41, 0x80, v5
                                        ; implicit-def: $vgpr40
	s_mov_b32 s8, exec_lo
	s_delay_alu instid0(VALU_DEP_2)
	v_cmpx_gt_u64_e32 0x43e00001, v[116:117]
	s_xor_b32 s19, exec_lo, s8
	s_cbranch_execz .LBB0_125
; %bb.116:                              ;   in Loop: Header=BB0_80 Depth=2
	v_mov_b32_e32 v40, 0
	s_mov_b32 s20, exec_lo
	v_cmpx_ne_u32_e32 0, v4
	s_cbranch_execz .LBB0_124
; %bb.117:                              ;   in Loop: Header=BB0_80 Depth=2
	v_bfe_u32 v40, v4, 23, 8
	v_and_b32_e32 v116, 0x7fffff, v4
	s_mov_b32 s21, exec_lo
	s_delay_alu instid0(VALU_DEP_2) | instskip(SKIP_1) | instid1(VALU_DEP_3)
	v_sub_nc_u32_e32 v5, 0x79, v40
	v_cmp_gt_u32_e32 vcc_lo, 0x7a, v40
	v_or_b32_e32 v117, 0x800000, v116
	s_delay_alu instid0(VALU_DEP_3) | instskip(SKIP_1) | instid1(VALU_DEP_2)
	v_cndmask_b32_e32 v5, 0, v5, vcc_lo
	v_cmp_eq_u32_e32 vcc_lo, 0, v40
	v_cndmask_b32_e64 v42, v5, 0x78, vcc_lo
	s_delay_alu instid0(VALU_DEP_4) | instskip(NEXT) | instid1(VALU_DEP_2)
	v_cndmask_b32_e32 v116, v117, v116, vcc_lo
	v_dual_mov_b32 v117, v65 :: v_dual_add_nc_u32 v4, 20, v42
	v_add_nc_u32_e32 v45, 19, v42
	s_delay_alu instid0(VALU_DEP_2) | instskip(NEXT) | instid1(VALU_DEP_2)
	v_lshlrev_b64_e64 v[4:5], v4, -1
	v_lshlrev_b64_e64 v[46:47], v45, 1
	s_delay_alu instid0(VALU_DEP_2) | instskip(NEXT) | instid1(VALU_DEP_3)
	v_bfi_b32 v61, v5, 0, 0
	v_bfi_b32 v60, v4, 0, v116
	v_lshrrev_b64 v[4:5], v42, v[116:117]
	s_delay_alu instid0(VALU_DEP_1) | instskip(NEXT) | instid1(VALU_DEP_3)
	v_mov_b64_e32 v[116:117], v[4:5]
	v_cmpx_eq_u64_e64 v[60:61], v[46:47]
; %bb.118:                              ;   in Loop: Header=BB0_80 Depth=2
	v_bfe_u32 v116, v4, 20, 1
	v_mov_b32_e32 v117, v65
	s_delay_alu instid0(VALU_DEP_1) | instskip(NEXT) | instid1(VALU_DEP_1)
	v_add_nc_u64_e32 v[116:117], v[4:5], v[116:117]
	v_add_nc_u64_e32 v[116:117], -1, v[116:117]
; %bb.119:                              ;   in Loop: Header=BB0_80 Depth=2
	s_or_b32 exec_lo, exec_lo, s21
	v_add_nc_u32_e32 v5, 0xffffff81, v40
	v_lshrrev_b32_e32 v117, 23, v4
	s_mov_b32 s8, exec_lo
	s_delay_alu instid0(VALU_DEP_2) | instskip(NEXT) | instid1(VALU_DEP_1)
	v_cndmask_b32_e64 v5, v5, 0xffffff82, vcc_lo
	v_add3_u32 v117, v42, v5, v117
	v_and_b32_e32 v5, 0xfffff, v116
                                        ; implicit-def: $vgpr116
	s_delay_alu instid0(VALU_DEP_1) | instskip(SKIP_1) | instid1(VALU_DEP_2)
	v_dual_add_nc_u32 v40, 6, v117 :: v_dual_add_nc_u32 v4, v5, v4
	v_mov_b32_e32 v5, v65
	v_cmpx_ne_u32_e32 0, v40
	s_xor_b32 s8, exec_lo, s8
; %bb.120:                              ;   in Loop: Header=BB0_80 Depth=2
	s_delay_alu instid0(VALU_DEP_2) | instskip(SKIP_2) | instid1(VALU_DEP_2)
	v_cmp_lt_u64_e32 vcc_lo, 0xffffff, v[4:5]
	v_add_nc_u32_e32 v116, 7, v117
	v_cndmask_b32_e64 v117, 0, 1, vcc_lo
	v_cndmask_b32_e32 v116, v40, v116, vcc_lo
	s_delay_alu instid0(VALU_DEP_2)
	v_lshrrev_b64 v[4:5], v117, v[4:5]
; %bb.121:                              ;   in Loop: Header=BB0_80 Depth=2
	s_and_not1_saveexec_b32 s8, s8
; %bb.122:                              ;   in Loop: Header=BB0_80 Depth=2
	s_delay_alu instid0(VALU_DEP_1)
	v_bfe_u32 v116, v4, 23, 1
; %bb.123:                              ;   in Loop: Header=BB0_80 Depth=2
	s_or_b32 exec_lo, exec_lo, s8
	s_delay_alu instid0(VALU_DEP_2) | instskip(NEXT) | instid1(VALU_DEP_2)
	v_lshrrev_b64 v[4:5], 20, v[4:5]
	v_cmp_gt_i32_e32 vcc_lo, 16, v116
	v_min_i32_e32 v117, 15, v116
	v_cmp_eq_u32_e64 s8, 0, v116
	s_delay_alu instid0(VALU_DEP_4) | instskip(NEXT) | instid1(VALU_DEP_3)
	v_cndmask_b32_e32 v5, 0, v5, vcc_lo
	v_dual_cndmask_b32 v4, 7, v4 :: v_dual_lshlrev_b32 v117, 3, v117
	s_delay_alu instid0(VALU_DEP_1) | instskip(NEXT) | instid1(VALU_DEP_2)
	v_and_b32_e32 v117, 0xf8, v117
	v_cmp_eq_u64_e32 vcc_lo, 0, v[4:5]
	s_delay_alu instid0(VALU_DEP_2)
	v_and_or_b32 v4, v4, 7, v117
	s_and_b32 s8, s8, vcc_lo
	s_delay_alu instid0(VALU_DEP_1) | instid1(SALU_CYCLE_1)
	v_cndmask_b32_e64 v4, v4, 0, s8
	s_delay_alu instid0(VALU_DEP_1)
	v_or_b32_e32 v40, v4, v41
.LBB0_124:                              ;   in Loop: Header=BB0_80 Depth=2
	s_or_b32 exec_lo, exec_lo, s20
                                        ; implicit-def: $vgpr41
.LBB0_125:                              ;   in Loop: Header=BB0_80 Depth=2
	s_and_not1_saveexec_b32 s8, s19
; %bb.126:                              ;   in Loop: Header=BB0_80 Depth=2
	v_or_b32_e32 v40, 0x7e, v41
; %bb.127:                              ;   in Loop: Header=BB0_80 Depth=2
	s_or_b32 exec_lo, exec_lo, s8
                                        ; implicit-def: $vgpr5
.LBB0_128:                              ;   in Loop: Header=BB0_80 Depth=2
	s_and_not1_saveexec_b32 s8, s18
; %bb.129:                              ;   in Loop: Header=BB0_80 Depth=2
	v_or_b32_e32 v40, 0x7f, v5
; %bb.130:                              ;   in Loop: Header=BB0_80 Depth=2
	s_or_b32 exec_lo, exec_lo, s8
	v_dual_lshrrev_b32 v116, 16, v64 :: v_dual_mov_b32 v4, 0
	s_mov_b32 s8, exec_lo
	s_delay_alu instid0(VALU_DEP_1) | instskip(NEXT) | instid1(VALU_DEP_1)
	v_and_b32_e32 v5, 0xff, v116
	v_cmpx_ne_u16_e32 0, v5
	s_cbranch_execz .LBB0_138
; %bb.131:                              ;   in Loop: Header=BB0_80 Depth=2
	v_bfrev_b32_e32 v4, 1
	s_mov_b32 s18, exec_lo
	v_cmpx_ne_u16_e32 0x80, v5
	s_cbranch_execz .LBB0_137
; %bb.132:                              ;   in Loop: Header=BB0_80 Depth=2
	v_bfe_u32 v41, v64, 16, 7
	v_mov_b32_e32 v4, 0x7f800001
	s_mov_b32 s19, exec_lo
	s_delay_alu instid0(VALU_DEP_2)
	v_cmpx_ne_u32_e32 0x7f, v41
	s_cbranch_execz .LBB0_136
; %bb.133:                              ;   in Loop: Header=BB0_80 Depth=2
	v_dual_mov_b32 v5, v65 :: v_dual_bitop2_b32 v4, 7, v116 bitop3:0x40
	v_lshrrev_b32_e32 v117, 3, v41
	s_mov_b32 s20, exec_lo
	v_cmpx_gt_u32_e32 8, v41
; %bb.134:                              ;   in Loop: Header=BB0_80 Depth=2
	s_delay_alu instid0(VALU_DEP_3) | instskip(NEXT) | instid1(VALU_DEP_1)
	v_clz_i32_u32_e32 v117, v4
	v_min_u32_e32 v117, 32, v117
	s_delay_alu instid0(VALU_DEP_1) | instskip(NEXT) | instid1(VALU_DEP_1)
	v_subrev_nc_u32_e32 v41, 28, v117
	v_lshlrev_b64_e32 v[4:5], v41, v[4:5]
	s_delay_alu instid0(VALU_DEP_1)
	v_dual_sub_nc_u32 v117, 29, v117 :: v_dual_bitop2_b32 v4, 7, v4 bitop3:0x40
; %bb.135:                              ;   in Loop: Header=BB0_80 Depth=2
	s_or_b32 exec_lo, exec_lo, s20
	v_lshlrev_b32_e32 v5, 24, v116
	s_delay_alu instid0(VALU_DEP_2) | instskip(NEXT) | instid1(VALU_DEP_3)
	v_lshlrev_b32_e32 v4, 20, v4
	v_lshl_add_u32 v116, v117, 23, 0x3c000000
	s_delay_alu instid0(VALU_DEP_3) | instskip(NEXT) | instid1(VALU_DEP_1)
	v_and_b32_e32 v5, 0x80000000, v5
	v_or3_b32 v4, v4, v5, v116
.LBB0_136:                              ;   in Loop: Header=BB0_80 Depth=2
	s_or_b32 exec_lo, exec_lo, s19
.LBB0_137:                              ;   in Loop: Header=BB0_80 Depth=2
	s_delay_alu instid0(SALU_CYCLE_1)
	s_or_b32 exec_lo, exec_lo, s18
.LBB0_138:                              ;   in Loop: Header=BB0_80 Depth=2
	s_delay_alu instid0(SALU_CYCLE_1) | instskip(NEXT) | instid1(VALU_DEP_1)
	s_or_b32 exec_lo, exec_lo, s8
	v_dual_mul_f32 v4, v30, v4 :: v_dual_mov_b32 v117, v65
                                        ; implicit-def: $vgpr41
	s_mov_b32 s8, exec_lo
	s_delay_alu instid0(VALU_DEP_1) | instskip(SKIP_1) | instid1(VALU_DEP_2)
	v_and_b32_e32 v116, 0x7f800000, v4
	v_lshrrev_b32_e32 v5, 24, v4
	v_cmpx_ne_u64_e32 0x7f800000, v[116:117]
	s_xor_b32 s18, exec_lo, s8
	s_cbranch_execz .LBB0_152
; %bb.139:                              ;   in Loop: Header=BB0_80 Depth=2
	v_and_b32_e32 v116, 0x7fffffff, v4
	v_mov_b32_e32 v117, v65
	v_and_b32_e32 v42, 0x80, v5
                                        ; implicit-def: $vgpr41
	s_mov_b32 s8, exec_lo
	s_delay_alu instid0(VALU_DEP_2)
	v_cmpx_gt_u64_e32 0x43e00001, v[116:117]
	s_xor_b32 s19, exec_lo, s8
	s_cbranch_execz .LBB0_149
; %bb.140:                              ;   in Loop: Header=BB0_80 Depth=2
	v_mov_b32_e32 v41, 0
	s_mov_b32 s20, exec_lo
	v_cmpx_ne_u32_e32 0, v4
	s_cbranch_execz .LBB0_148
; %bb.141:                              ;   in Loop: Header=BB0_80 Depth=2
	v_bfe_u32 v41, v4, 23, 8
	v_and_b32_e32 v116, 0x7fffff, v4
	s_mov_b32 s21, exec_lo
	s_delay_alu instid0(VALU_DEP_2) | instskip(NEXT) | instid1(VALU_DEP_2)
	v_cmp_gt_u32_e32 vcc_lo, 0x7a, v41
	v_or_b32_e32 v117, 0x800000, v116
	v_sub_nc_u32_e32 v5, 0x79, v41
	s_delay_alu instid0(VALU_DEP_1) | instskip(SKIP_1) | instid1(VALU_DEP_4)
	v_cndmask_b32_e32 v5, 0, v5, vcc_lo
	v_cmp_eq_u32_e32 vcc_lo, 0, v41
	v_cndmask_b32_e32 v116, v117, v116, vcc_lo
	v_mov_b32_e32 v117, v65
	s_delay_alu instid0(VALU_DEP_4) | instskip(NEXT) | instid1(VALU_DEP_1)
	v_cndmask_b32_e64 v45, v5, 0x78, vcc_lo
	v_dual_add_nc_u32 v4, 20, v45 :: v_dual_add_nc_u32 v46, 19, v45
	s_delay_alu instid0(VALU_DEP_1) | instskip(NEXT) | instid1(VALU_DEP_2)
	v_lshlrev_b64_e64 v[4:5], v4, -1
	v_lshlrev_b64_e64 v[46:47], v46, 1
	s_delay_alu instid0(VALU_DEP_2) | instskip(NEXT) | instid1(VALU_DEP_3)
	v_bfi_b32 v61, v5, 0, 0
	v_bfi_b32 v60, v4, 0, v116
	v_lshrrev_b64 v[4:5], v45, v[116:117]
	s_delay_alu instid0(VALU_DEP_1) | instskip(NEXT) | instid1(VALU_DEP_3)
	v_mov_b64_e32 v[116:117], v[4:5]
	v_cmpx_eq_u64_e64 v[60:61], v[46:47]
; %bb.142:                              ;   in Loop: Header=BB0_80 Depth=2
	v_bfe_u32 v116, v4, 20, 1
	v_mov_b32_e32 v117, v65
	s_delay_alu instid0(VALU_DEP_1) | instskip(NEXT) | instid1(VALU_DEP_1)
	v_add_nc_u64_e32 v[116:117], v[4:5], v[116:117]
	v_add_nc_u64_e32 v[116:117], -1, v[116:117]
; %bb.143:                              ;   in Loop: Header=BB0_80 Depth=2
	s_or_b32 exec_lo, exec_lo, s21
	v_add_nc_u32_e32 v5, 0xffffff81, v41
	v_lshrrev_b32_e32 v117, 23, v4
	s_mov_b32 s8, exec_lo
	s_delay_alu instid0(VALU_DEP_2) | instskip(NEXT) | instid1(VALU_DEP_1)
	v_cndmask_b32_e64 v5, v5, 0xffffff82, vcc_lo
	v_add3_u32 v117, v45, v5, v117
	v_and_b32_e32 v5, 0xfffff, v116
                                        ; implicit-def: $vgpr116
	s_delay_alu instid0(VALU_DEP_1) | instskip(SKIP_1) | instid1(VALU_DEP_2)
	v_dual_add_nc_u32 v41, 6, v117 :: v_dual_add_nc_u32 v4, v5, v4
	v_mov_b32_e32 v5, v65
	v_cmpx_ne_u32_e32 0, v41
	s_xor_b32 s8, exec_lo, s8
; %bb.144:                              ;   in Loop: Header=BB0_80 Depth=2
	s_delay_alu instid0(VALU_DEP_2) | instskip(SKIP_2) | instid1(VALU_DEP_2)
	v_cmp_lt_u64_e32 vcc_lo, 0xffffff, v[4:5]
	v_add_nc_u32_e32 v116, 7, v117
	v_cndmask_b32_e64 v117, 0, 1, vcc_lo
	v_cndmask_b32_e32 v116, v41, v116, vcc_lo
	s_delay_alu instid0(VALU_DEP_2)
	v_lshrrev_b64 v[4:5], v117, v[4:5]
; %bb.145:                              ;   in Loop: Header=BB0_80 Depth=2
	s_and_not1_saveexec_b32 s8, s8
; %bb.146:                              ;   in Loop: Header=BB0_80 Depth=2
	s_delay_alu instid0(VALU_DEP_1)
	v_bfe_u32 v116, v4, 23, 1
; %bb.147:                              ;   in Loop: Header=BB0_80 Depth=2
	s_or_b32 exec_lo, exec_lo, s8
	s_delay_alu instid0(VALU_DEP_2) | instskip(NEXT) | instid1(VALU_DEP_2)
	v_lshrrev_b64 v[4:5], 20, v[4:5]
	v_cmp_gt_i32_e32 vcc_lo, 16, v116
	v_min_i32_e32 v117, 15, v116
	v_cmp_eq_u32_e64 s8, 0, v116
	s_delay_alu instid0(VALU_DEP_4) | instskip(NEXT) | instid1(VALU_DEP_3)
	v_cndmask_b32_e32 v5, 0, v5, vcc_lo
	v_dual_cndmask_b32 v4, 7, v4 :: v_dual_lshlrev_b32 v117, 3, v117
	s_delay_alu instid0(VALU_DEP_1) | instskip(NEXT) | instid1(VALU_DEP_2)
	v_and_b32_e32 v117, 0xf8, v117
	v_cmp_eq_u64_e32 vcc_lo, 0, v[4:5]
	s_delay_alu instid0(VALU_DEP_2)
	v_and_or_b32 v4, v4, 7, v117
	s_and_b32 s8, s8, vcc_lo
	s_delay_alu instid0(VALU_DEP_1) | instid1(SALU_CYCLE_1)
	v_cndmask_b32_e64 v4, v4, 0, s8
	s_delay_alu instid0(VALU_DEP_1)
	v_or_b32_e32 v41, v4, v42
.LBB0_148:                              ;   in Loop: Header=BB0_80 Depth=2
	s_or_b32 exec_lo, exec_lo, s20
                                        ; implicit-def: $vgpr42
.LBB0_149:                              ;   in Loop: Header=BB0_80 Depth=2
	s_and_not1_saveexec_b32 s8, s19
; %bb.150:                              ;   in Loop: Header=BB0_80 Depth=2
	v_or_b32_e32 v41, 0x7e, v42
; %bb.151:                              ;   in Loop: Header=BB0_80 Depth=2
	s_or_b32 exec_lo, exec_lo, s8
                                        ; implicit-def: $vgpr5
.LBB0_152:                              ;   in Loop: Header=BB0_80 Depth=2
	s_and_not1_saveexec_b32 s8, s18
; %bb.153:                              ;   in Loop: Header=BB0_80 Depth=2
	v_or_b32_e32 v41, 0x7f, v5
; %bb.154:                              ;   in Loop: Header=BB0_80 Depth=2
	s_or_b32 exec_lo, exec_lo, s8
	v_mov_b32_e32 v5, 0
	s_mov_b32 s8, exec_lo
	v_cmpx_lt_u32_e32 0xffffff, v64
	s_cbranch_execz .LBB0_162
; %bb.155:                              ;   in Loop: Header=BB0_80 Depth=2
	v_lshrrev_b32_e32 v4, 24, v64
	v_bfrev_b32_e32 v5, 1
	s_mov_b32 s18, exec_lo
	s_delay_alu instid0(VALU_DEP_2)
	v_cmpx_ne_u32_e32 0x80, v4
	s_cbranch_execz .LBB0_161
; %bb.156:                              ;   in Loop: Header=BB0_80 Depth=2
	v_bfe_u32 v116, v64, 24, 7
	v_mov_b32_e32 v5, 0x7f800001
	s_mov_b32 s19, exec_lo
	s_delay_alu instid0(VALU_DEP_2)
	v_cmpx_ne_u32_e32 0x7f, v116
	s_cbranch_execz .LBB0_160
; %bb.157:                              ;   in Loop: Header=BB0_80 Depth=2
	v_and_b32_e32 v64, 7, v4
	v_lshrrev_b32_e32 v5, 3, v116
	s_mov_b32 s20, exec_lo
	v_cmpx_gt_u32_e32 8, v116
; %bb.158:                              ;   in Loop: Header=BB0_80 Depth=2
	s_delay_alu instid0(VALU_DEP_3) | instskip(NEXT) | instid1(VALU_DEP_1)
	v_clz_i32_u32_e32 v5, v64
	v_min_u32_e32 v5, 32, v5
	s_delay_alu instid0(VALU_DEP_1) | instskip(NEXT) | instid1(VALU_DEP_1)
	v_subrev_nc_u32_e32 v116, 28, v5
	v_lshlrev_b64_e32 v[116:117], v116, v[64:65]
	s_delay_alu instid0(VALU_DEP_1)
	v_dual_sub_nc_u32 v5, 29, v5 :: v_dual_bitop2_b32 v64, 7, v116 bitop3:0x40
; %bb.159:                              ;   in Loop: Header=BB0_80 Depth=2
	s_or_b32 exec_lo, exec_lo, s20
	v_lshlrev_b32_e32 v4, 24, v4
	s_delay_alu instid0(VALU_DEP_2) | instskip(NEXT) | instid1(VALU_DEP_3)
	v_lshlrev_b32_e32 v64, 20, v64
	v_lshl_add_u32 v5, v5, 23, 0x3c000000
	s_delay_alu instid0(VALU_DEP_3) | instskip(NEXT) | instid1(VALU_DEP_1)
	v_and_b32_e32 v4, 0x80000000, v4
	v_or3_b32 v5, v64, v4, v5
.LBB0_160:                              ;   in Loop: Header=BB0_80 Depth=2
	s_or_b32 exec_lo, exec_lo, s19
.LBB0_161:                              ;   in Loop: Header=BB0_80 Depth=2
	s_delay_alu instid0(SALU_CYCLE_1)
	s_or_b32 exec_lo, exec_lo, s18
.LBB0_162:                              ;   in Loop: Header=BB0_80 Depth=2
	s_delay_alu instid0(SALU_CYCLE_1) | instskip(NEXT) | instid1(VALU_DEP_1)
	s_or_b32 exec_lo, exec_lo, s8
	v_mul_f32_e32 v4, v30, v5
                                        ; implicit-def: $vgpr42
	s_mov_b32 s8, exec_lo
	s_delay_alu instid0(VALU_DEP_1) | instskip(SKIP_1) | instid1(VALU_DEP_2)
	v_and_b32_e32 v64, 0x7f800000, v4
	v_lshrrev_b32_e32 v5, 24, v4
	v_cmpx_ne_u64_e32 0x7f800000, v[64:65]
	s_xor_b32 s18, exec_lo, s8
	s_cbranch_execz .LBB0_176
; %bb.163:                              ;   in Loop: Header=BB0_80 Depth=2
	v_and_b32_e32 v64, 0x7fffffff, v4
	v_and_b32_e32 v45, 0x80, v5
                                        ; implicit-def: $vgpr42
	s_mov_b32 s8, exec_lo
	s_delay_alu instid0(VALU_DEP_2)
	v_cmpx_gt_u64_e32 0x43e00001, v[64:65]
	s_xor_b32 s19, exec_lo, s8
	s_cbranch_execz .LBB0_173
; %bb.164:                              ;   in Loop: Header=BB0_80 Depth=2
	v_mov_b32_e32 v42, 0
	s_mov_b32 s20, exec_lo
	v_cmpx_ne_u32_e32 0, v4
	s_cbranch_execz .LBB0_172
; %bb.165:                              ;   in Loop: Header=BB0_80 Depth=2
	v_bfe_u32 v42, v4, 23, 8
	v_and_b32_e32 v64, 0x7fffff, v4
	s_delay_alu instid0(VALU_DEP_2) | instskip(NEXT) | instid1(VALU_DEP_2)
	v_cmp_gt_u32_e32 vcc_lo, 0x7a, v42
	v_or_b32_e32 v116, 0x800000, v64
	v_sub_nc_u32_e32 v5, 0x79, v42
	s_delay_alu instid0(VALU_DEP_1) | instskip(SKIP_1) | instid1(VALU_DEP_2)
	v_cndmask_b32_e32 v5, 0, v5, vcc_lo
	v_cmp_eq_u32_e32 vcc_lo, 0, v42
	v_cndmask_b32_e64 v46, v5, 0x78, vcc_lo
	s_delay_alu instid0(VALU_DEP_1) | instskip(SKIP_1) | instid1(VALU_DEP_2)
	v_dual_cndmask_b32 v64, v116, v64, vcc_lo :: v_dual_add_nc_u32 v4, 20, v46
	v_add_nc_u32_e32 v117, 19, v46
	v_lshlrev_b64_e64 v[4:5], v4, -1
	s_delay_alu instid0(VALU_DEP_2) | instskip(NEXT) | instid1(VALU_DEP_2)
	v_lshlrev_b64_e64 v[116:117], v117, 1
	v_bfi_b32 v61, v5, 0, 0
	s_delay_alu instid0(VALU_DEP_3) | instskip(SKIP_1) | instid1(VALU_DEP_2)
	v_bfi_b32 v60, v4, 0, v64
	v_lshrrev_b64 v[4:5], v46, v[64:65]
	v_cmp_eq_u64_e64 s8, v[60:61], v[116:117]
	s_delay_alu instid0(VALU_DEP_2)
	v_mov_b64_e32 v[116:117], v[4:5]
	s_and_saveexec_b32 s21, s8
; %bb.166:                              ;   in Loop: Header=BB0_80 Depth=2
	v_bfe_u32 v64, v4, 20, 1
	s_delay_alu instid0(VALU_DEP_1) | instskip(NEXT) | instid1(VALU_DEP_1)
	v_add_nc_u64_e32 v[116:117], v[4:5], v[64:65]
	v_add_nc_u64_e32 v[116:117], -1, v[116:117]
; %bb.167:                              ;   in Loop: Header=BB0_80 Depth=2
	s_or_b32 exec_lo, exec_lo, s21
	v_add_nc_u32_e32 v5, 0xffffff81, v42
	v_lshrrev_b32_e32 v64, 23, v4
	s_mov_b32 s8, exec_lo
	s_delay_alu instid0(VALU_DEP_2) | instskip(NEXT) | instid1(VALU_DEP_1)
	v_cndmask_b32_e64 v5, v5, 0xffffff82, vcc_lo
	v_add3_u32 v117, v46, v5, v64
	v_and_b32_e32 v5, 0xfffff, v116
                                        ; implicit-def: $vgpr116
	s_delay_alu instid0(VALU_DEP_1) | instskip(NEXT) | instid1(VALU_DEP_1)
	v_dual_add_nc_u32 v42, 6, v117 :: v_dual_add_nc_u32 v64, v5, v4
                                        ; implicit-def: $vgpr4_vgpr5
	v_cmpx_ne_u32_e32 0, v42
	s_xor_b32 s8, exec_lo, s8
; %bb.168:                              ;   in Loop: Header=BB0_80 Depth=2
	s_delay_alu instid0(VALU_DEP_2) | instskip(SKIP_1) | instid1(VALU_DEP_1)
	v_cmp_lt_u64_e32 vcc_lo, 0xffffff, v[64:65]
	v_add_nc_u32_e32 v4, 7, v117
	v_cndmask_b32_e32 v116, v42, v4, vcc_lo
	v_cndmask_b32_e64 v4, 0, 1, vcc_lo
	s_delay_alu instid0(VALU_DEP_1)
	v_lshrrev_b64 v[4:5], v4, v[64:65]
; %bb.169:                              ;   in Loop: Header=BB0_80 Depth=2
	s_and_not1_saveexec_b32 s8, s8
; %bb.170:                              ;   in Loop: Header=BB0_80 Depth=2
	v_mov_b64_e32 v[4:5], v[64:65]
	v_bfe_u32 v116, v64, 23, 1
; %bb.171:                              ;   in Loop: Header=BB0_80 Depth=2
	s_or_b32 exec_lo, exec_lo, s8
	s_delay_alu instid0(VALU_DEP_2) | instskip(NEXT) | instid1(VALU_DEP_2)
	v_lshrrev_b64 v[4:5], 20, v[4:5]
	v_cmp_gt_i32_e32 vcc_lo, 16, v116
	v_min_i32_e32 v64, 15, v116
	v_cmp_eq_u32_e64 s8, 0, v116
	s_delay_alu instid0(VALU_DEP_2) | instskip(SKIP_1) | instid1(VALU_DEP_2)
	v_dual_cndmask_b32 v5, 0, v5 :: v_dual_lshlrev_b32 v64, 3, v64
	v_cndmask_b32_e32 v4, 7, v4, vcc_lo
	v_and_b32_e32 v64, 0xf8, v64
	s_delay_alu instid0(VALU_DEP_2) | instskip(NEXT) | instid1(VALU_DEP_2)
	v_cmp_eq_u64_e32 vcc_lo, 0, v[4:5]
	v_and_or_b32 v4, v4, 7, v64
	s_and_b32 s8, s8, vcc_lo
	s_delay_alu instid0(VALU_DEP_1) | instid1(SALU_CYCLE_1)
	v_cndmask_b32_e64 v4, v4, 0, s8
	s_delay_alu instid0(VALU_DEP_1)
	v_or_b32_e32 v42, v4, v45
.LBB0_172:                              ;   in Loop: Header=BB0_80 Depth=2
	s_or_b32 exec_lo, exec_lo, s20
                                        ; implicit-def: $vgpr45
.LBB0_173:                              ;   in Loop: Header=BB0_80 Depth=2
	s_and_not1_saveexec_b32 s8, s19
; %bb.174:                              ;   in Loop: Header=BB0_80 Depth=2
	v_or_b32_e32 v42, 0x7e, v45
; %bb.175:                              ;   in Loop: Header=BB0_80 Depth=2
	s_or_b32 exec_lo, exec_lo, s8
                                        ; implicit-def: $vgpr5
.LBB0_176:                              ;   in Loop: Header=BB0_80 Depth=2
	s_and_not1_saveexec_b32 s8, s18
; %bb.177:                              ;   in Loop: Header=BB0_80 Depth=2
	v_or_b32_e32 v42, 0x7f, v5
; %bb.178:                              ;   in Loop: Header=BB0_80 Depth=2
	s_or_b32 exec_lo, exec_lo, s8
	v_alignbit_b32 v64, v43, v44, v118
	v_mov_b32_e32 v4, 0
	s_mov_b32 s8, exec_lo
	s_delay_alu instid0(VALU_DEP_2) | instskip(NEXT) | instid1(VALU_DEP_1)
	v_and_b32_e32 v5, 0xff, v64
	v_cmpx_ne_u16_e32 0, v5
	s_cbranch_execz .LBB0_184
; %bb.179:                              ;   in Loop: Header=BB0_80 Depth=2
	v_bfrev_b32_e32 v4, 1
	s_mov_b32 s18, exec_lo
	v_cmpx_ne_u16_e32 0x80, v5
	s_cbranch_execz .LBB0_183
; %bb.180:                              ;   in Loop: Header=BB0_80 Depth=2
	v_and_b32_e32 v5, 0x7f, v64
	v_mov_b32_e32 v4, 0x7f800001
	s_mov_b32 s19, exec_lo
	s_delay_alu instid0(VALU_DEP_2)
	v_cmpx_ne_u32_e32 0x7f, v5
	s_cbranch_execz .LBB0_182
; %bb.181:                              ;   in Loop: Header=BB0_80 Depth=2
	v_dual_lshrrev_b32 v116, 3, v5 :: v_dual_bitop2_b32 v4, 7, v64 bitop3:0x40
	v_cmp_gt_u32_e32 vcc_lo, 8, v5
	s_delay_alu instid0(VALU_DEP_2) | instskip(NEXT) | instid1(VALU_DEP_1)
	v_clz_i32_u32_e32 v4, v4
	v_min_u32_e32 v4, 32, v4
	s_delay_alu instid0(VALU_DEP_1) | instskip(SKIP_1) | instid1(VALU_DEP_1)
	v_subrev_nc_u32_e32 v117, 28, v4
	v_sub_nc_u32_e32 v4, 29, v4
	v_dual_cndmask_b32 v116, v116, v4, vcc_lo :: v_dual_cndmask_b32 v4, 0, v117, vcc_lo
	s_delay_alu instid0(VALU_DEP_1) | instskip(NEXT) | instid1(VALU_DEP_2)
	v_lshl_add_u32 v116, v116, 23, 0x3c000000
	v_lshlrev_b64_e32 v[4:5], v4, v[64:65]
	v_lshlrev_b32_e32 v5, 24, v64
	s_delay_alu instid0(VALU_DEP_1) | instskip(NEXT) | instid1(VALU_DEP_3)
	v_and_b32_e32 v5, 0x80000000, v5
	v_lshlrev_b32_e32 v4, 20, v4
	s_delay_alu instid0(VALU_DEP_1) | instskip(NEXT) | instid1(VALU_DEP_1)
	v_and_b32_e32 v4, 0x700000, v4
	v_or3_b32 v4, v4, v5, v116
.LBB0_182:                              ;   in Loop: Header=BB0_80 Depth=2
	s_or_b32 exec_lo, exec_lo, s19
.LBB0_183:                              ;   in Loop: Header=BB0_80 Depth=2
	s_delay_alu instid0(SALU_CYCLE_1)
	s_or_b32 exec_lo, exec_lo, s18
.LBB0_184:                              ;   in Loop: Header=BB0_80 Depth=2
	s_delay_alu instid0(SALU_CYCLE_1) | instskip(NEXT) | instid1(VALU_DEP_1)
	s_or_b32 exec_lo, exec_lo, s8
	v_dual_mul_f32 v4, v30, v4 :: v_dual_mov_b32 v117, v65
                                        ; implicit-def: $vgpr43
	s_mov_b32 s8, exec_lo
	s_delay_alu instid0(VALU_DEP_1) | instskip(SKIP_1) | instid1(VALU_DEP_2)
	v_and_b32_e32 v116, 0x7f800000, v4
	v_lshrrev_b32_e32 v5, 24, v4
	v_cmpx_ne_u64_e32 0x7f800000, v[116:117]
	s_xor_b32 s18, exec_lo, s8
	s_cbranch_execz .LBB0_198
; %bb.185:                              ;   in Loop: Header=BB0_80 Depth=2
	v_and_b32_e32 v116, 0x7fffffff, v4
	v_mov_b32_e32 v117, v65
	v_and_b32_e32 v44, 0x80, v5
                                        ; implicit-def: $vgpr43
	s_mov_b32 s8, exec_lo
	s_delay_alu instid0(VALU_DEP_2)
	v_cmpx_gt_u64_e32 0x43e00001, v[116:117]
	s_xor_b32 s19, exec_lo, s8
	s_cbranch_execz .LBB0_195
; %bb.186:                              ;   in Loop: Header=BB0_80 Depth=2
	v_mov_b32_e32 v43, 0
	s_mov_b32 s20, exec_lo
	v_cmpx_ne_u32_e32 0, v4
	s_cbranch_execz .LBB0_194
; %bb.187:                              ;   in Loop: Header=BB0_80 Depth=2
	v_bfe_u32 v43, v4, 23, 8
	v_and_b32_e32 v116, 0x7fffff, v4
	s_mov_b32 s21, exec_lo
	s_delay_alu instid0(VALU_DEP_2) | instskip(NEXT) | instid1(VALU_DEP_2)
	v_cmp_gt_u32_e32 vcc_lo, 0x7a, v43
	v_or_b32_e32 v117, 0x800000, v116
	v_sub_nc_u32_e32 v5, 0x79, v43
	s_delay_alu instid0(VALU_DEP_1) | instskip(SKIP_1) | instid1(VALU_DEP_4)
	v_cndmask_b32_e32 v5, 0, v5, vcc_lo
	v_cmp_eq_u32_e32 vcc_lo, 0, v43
	v_cndmask_b32_e32 v116, v117, v116, vcc_lo
	v_mov_b32_e32 v117, v65
	s_delay_alu instid0(VALU_DEP_4) | instskip(NEXT) | instid1(VALU_DEP_1)
	v_cndmask_b32_e64 v45, v5, 0x78, vcc_lo
	v_dual_add_nc_u32 v4, 20, v45 :: v_dual_add_nc_u32 v46, 19, v45
	s_delay_alu instid0(VALU_DEP_1) | instskip(NEXT) | instid1(VALU_DEP_2)
	v_lshlrev_b64_e64 v[4:5], v4, -1
	v_lshlrev_b64_e64 v[46:47], v46, 1
	s_delay_alu instid0(VALU_DEP_2) | instskip(NEXT) | instid1(VALU_DEP_3)
	v_bfi_b32 v61, v5, 0, 0
	v_bfi_b32 v60, v4, 0, v116
	v_lshrrev_b64 v[4:5], v45, v[116:117]
	s_delay_alu instid0(VALU_DEP_1) | instskip(NEXT) | instid1(VALU_DEP_3)
	v_mov_b64_e32 v[116:117], v[4:5]
	v_cmpx_eq_u64_e64 v[60:61], v[46:47]
; %bb.188:                              ;   in Loop: Header=BB0_80 Depth=2
	v_bfe_u32 v116, v4, 20, 1
	v_mov_b32_e32 v117, v65
	s_delay_alu instid0(VALU_DEP_1) | instskip(NEXT) | instid1(VALU_DEP_1)
	v_add_nc_u64_e32 v[116:117], v[4:5], v[116:117]
	v_add_nc_u64_e32 v[116:117], -1, v[116:117]
; %bb.189:                              ;   in Loop: Header=BB0_80 Depth=2
	s_or_b32 exec_lo, exec_lo, s21
	v_add_nc_u32_e32 v5, 0xffffff81, v43
	v_lshrrev_b32_e32 v117, 23, v4
	s_mov_b32 s8, exec_lo
	s_delay_alu instid0(VALU_DEP_2) | instskip(NEXT) | instid1(VALU_DEP_1)
	v_cndmask_b32_e64 v5, v5, 0xffffff82, vcc_lo
	v_add3_u32 v117, v45, v5, v117
	v_and_b32_e32 v5, 0xfffff, v116
                                        ; implicit-def: $vgpr116
	s_delay_alu instid0(VALU_DEP_1) | instskip(SKIP_1) | instid1(VALU_DEP_2)
	v_dual_add_nc_u32 v43, 6, v117 :: v_dual_add_nc_u32 v4, v5, v4
	v_mov_b32_e32 v5, v65
	v_cmpx_ne_u32_e32 0, v43
	s_xor_b32 s8, exec_lo, s8
; %bb.190:                              ;   in Loop: Header=BB0_80 Depth=2
	s_delay_alu instid0(VALU_DEP_2) | instskip(SKIP_2) | instid1(VALU_DEP_2)
	v_cmp_lt_u64_e32 vcc_lo, 0xffffff, v[4:5]
	v_add_nc_u32_e32 v116, 7, v117
	v_cndmask_b32_e64 v117, 0, 1, vcc_lo
	v_cndmask_b32_e32 v116, v43, v116, vcc_lo
	s_delay_alu instid0(VALU_DEP_2)
	v_lshrrev_b64 v[4:5], v117, v[4:5]
; %bb.191:                              ;   in Loop: Header=BB0_80 Depth=2
	s_and_not1_saveexec_b32 s8, s8
; %bb.192:                              ;   in Loop: Header=BB0_80 Depth=2
	s_delay_alu instid0(VALU_DEP_1)
	v_bfe_u32 v116, v4, 23, 1
; %bb.193:                              ;   in Loop: Header=BB0_80 Depth=2
	s_or_b32 exec_lo, exec_lo, s8
	s_delay_alu instid0(VALU_DEP_2) | instskip(NEXT) | instid1(VALU_DEP_2)
	v_lshrrev_b64 v[4:5], 20, v[4:5]
	v_cmp_gt_i32_e32 vcc_lo, 16, v116
	v_min_i32_e32 v117, 15, v116
	v_cmp_eq_u32_e64 s8, 0, v116
	s_delay_alu instid0(VALU_DEP_4) | instskip(NEXT) | instid1(VALU_DEP_3)
	v_cndmask_b32_e32 v5, 0, v5, vcc_lo
	v_dual_cndmask_b32 v4, 7, v4 :: v_dual_lshlrev_b32 v117, 3, v117
	s_delay_alu instid0(VALU_DEP_1) | instskip(NEXT) | instid1(VALU_DEP_2)
	v_and_b32_e32 v117, 0xf8, v117
	v_cmp_eq_u64_e32 vcc_lo, 0, v[4:5]
	s_delay_alu instid0(VALU_DEP_2)
	v_and_or_b32 v4, v4, 7, v117
	s_and_b32 s8, s8, vcc_lo
	s_delay_alu instid0(VALU_DEP_1) | instid1(SALU_CYCLE_1)
	v_cndmask_b32_e64 v4, v4, 0, s8
	s_delay_alu instid0(VALU_DEP_1)
	v_or_b32_e32 v43, v4, v44
.LBB0_194:                              ;   in Loop: Header=BB0_80 Depth=2
	s_or_b32 exec_lo, exec_lo, s20
                                        ; implicit-def: $vgpr44
.LBB0_195:                              ;   in Loop: Header=BB0_80 Depth=2
	s_and_not1_saveexec_b32 s8, s19
; %bb.196:                              ;   in Loop: Header=BB0_80 Depth=2
	v_or_b32_e32 v43, 0x7e, v44
; %bb.197:                              ;   in Loop: Header=BB0_80 Depth=2
	s_or_b32 exec_lo, exec_lo, s8
                                        ; implicit-def: $vgpr5
.LBB0_198:                              ;   in Loop: Header=BB0_80 Depth=2
	s_and_not1_saveexec_b32 s8, s18
; %bb.199:                              ;   in Loop: Header=BB0_80 Depth=2
	v_or_b32_e32 v43, 0x7f, v5
; %bb.200:                              ;   in Loop: Header=BB0_80 Depth=2
	s_or_b32 exec_lo, exec_lo, s8
	v_lshrrev_b16 v5, 8, v64
	v_mov_b32_e32 v4, 0
	s_mov_b32 s8, exec_lo
	s_delay_alu instid0(VALU_DEP_2)
	v_cmpx_ne_u16_e32 0, v5
	s_cbranch_execz .LBB0_208
; %bb.201:                              ;   in Loop: Header=BB0_80 Depth=2
	v_bfrev_b32_e32 v4, 1
	s_mov_b32 s18, exec_lo
	v_cmpx_ne_u16_e32 0x80, v5
	s_cbranch_execz .LBB0_207
; %bb.202:                              ;   in Loop: Header=BB0_80 Depth=2
	v_and_b32_e32 v5, 0xffff, v5
	v_mov_b32_e32 v4, 0x7f800001
	s_mov_b32 s19, exec_lo
	s_delay_alu instid0(VALU_DEP_2) | instskip(NEXT) | instid1(VALU_DEP_1)
	v_and_b32_e32 v117, 0x7f, v5
	v_cmpx_ne_u32_e32 0x7f, v117
	s_cbranch_execz .LBB0_206
; %bb.203:                              ;   in Loop: Header=BB0_80 Depth=2
	v_dual_mov_b32 v5, v65 :: v_dual_bitop2_b32 v4, 7, v5 bitop3:0x40
	v_lshrrev_b32_e32 v116, 3, v117
	s_mov_b32 s20, exec_lo
	v_cmpx_gt_u32_e32 8, v117
; %bb.204:                              ;   in Loop: Header=BB0_80 Depth=2
	s_delay_alu instid0(VALU_DEP_3) | instskip(NEXT) | instid1(VALU_DEP_1)
	v_clz_i32_u32_e32 v116, v4
	v_min_u32_e32 v116, 32, v116
	s_delay_alu instid0(VALU_DEP_1) | instskip(SKIP_1) | instid1(VALU_DEP_2)
	v_subrev_nc_u32_e32 v117, 28, v116
	v_sub_nc_u32_e32 v116, 29, v116
	v_lshlrev_b64_e32 v[4:5], v117, v[4:5]
	s_delay_alu instid0(VALU_DEP_1)
	v_and_b32_e32 v4, 7, v4
; %bb.205:                              ;   in Loop: Header=BB0_80 Depth=2
	s_or_b32 exec_lo, exec_lo, s20
	v_lshlrev_b32_e32 v5, 16, v64
	s_delay_alu instid0(VALU_DEP_2) | instskip(SKIP_1) | instid1(VALU_DEP_3)
	v_lshlrev_b32_e32 v4, 20, v4
	v_lshl_add_u32 v116, v116, 23, 0x3c000000
	v_and_b32_e32 v5, 0x80000000, v5
	s_delay_alu instid0(VALU_DEP_1)
	v_or3_b32 v4, v4, v5, v116
.LBB0_206:                              ;   in Loop: Header=BB0_80 Depth=2
	s_or_b32 exec_lo, exec_lo, s19
.LBB0_207:                              ;   in Loop: Header=BB0_80 Depth=2
	s_delay_alu instid0(SALU_CYCLE_1)
	s_or_b32 exec_lo, exec_lo, s18
.LBB0_208:                              ;   in Loop: Header=BB0_80 Depth=2
	s_delay_alu instid0(SALU_CYCLE_1) | instskip(NEXT) | instid1(VALU_DEP_1)
	s_or_b32 exec_lo, exec_lo, s8
	v_dual_mul_f32 v4, v30, v4 :: v_dual_mov_b32 v117, v65
                                        ; implicit-def: $vgpr44
	s_mov_b32 s8, exec_lo
	s_delay_alu instid0(VALU_DEP_1) | instskip(SKIP_1) | instid1(VALU_DEP_2)
	v_and_b32_e32 v116, 0x7f800000, v4
	v_lshrrev_b32_e32 v5, 24, v4
	v_cmpx_ne_u64_e32 0x7f800000, v[116:117]
	s_xor_b32 s18, exec_lo, s8
	s_cbranch_execz .LBB0_222
; %bb.209:                              ;   in Loop: Header=BB0_80 Depth=2
	v_and_b32_e32 v116, 0x7fffffff, v4
	v_mov_b32_e32 v117, v65
	v_and_b32_e32 v45, 0x80, v5
                                        ; implicit-def: $vgpr44
	s_mov_b32 s8, exec_lo
	s_delay_alu instid0(VALU_DEP_2)
	v_cmpx_gt_u64_e32 0x43e00001, v[116:117]
	s_xor_b32 s19, exec_lo, s8
	s_cbranch_execz .LBB0_219
; %bb.210:                              ;   in Loop: Header=BB0_80 Depth=2
	v_mov_b32_e32 v44, 0
	s_mov_b32 s20, exec_lo
	v_cmpx_ne_u32_e32 0, v4
	s_cbranch_execz .LBB0_218
; %bb.211:                              ;   in Loop: Header=BB0_80 Depth=2
	v_bfe_u32 v44, v4, 23, 8
	v_and_b32_e32 v116, 0x7fffff, v4
	s_mov_b32 s21, exec_lo
	s_delay_alu instid0(VALU_DEP_2) | instskip(SKIP_1) | instid1(VALU_DEP_3)
	v_sub_nc_u32_e32 v5, 0x79, v44
	v_cmp_gt_u32_e32 vcc_lo, 0x7a, v44
	v_or_b32_e32 v117, 0x800000, v116
	s_delay_alu instid0(VALU_DEP_3) | instskip(SKIP_1) | instid1(VALU_DEP_2)
	v_cndmask_b32_e32 v5, 0, v5, vcc_lo
	v_cmp_eq_u32_e32 vcc_lo, 0, v44
	v_cndmask_b32_e64 v46, v5, 0x78, vcc_lo
	s_delay_alu instid0(VALU_DEP_4) | instskip(NEXT) | instid1(VALU_DEP_2)
	v_cndmask_b32_e32 v116, v117, v116, vcc_lo
	v_dual_mov_b32 v117, v65 :: v_dual_add_nc_u32 v4, 20, v46
	v_add_nc_u32_e32 v47, 19, v46
	s_delay_alu instid0(VALU_DEP_2) | instskip(NEXT) | instid1(VALU_DEP_2)
	v_lshlrev_b64_e64 v[4:5], v4, -1
	v_lshlrev_b64_e64 v[60:61], v47, 1
	s_delay_alu instid0(VALU_DEP_2) | instskip(NEXT) | instid1(VALU_DEP_3)
	v_bfi_b32 v63, v5, 0, 0
	v_bfi_b32 v62, v4, 0, v116
	v_lshrrev_b64 v[4:5], v46, v[116:117]
	s_delay_alu instid0(VALU_DEP_1) | instskip(NEXT) | instid1(VALU_DEP_3)
	v_mov_b64_e32 v[116:117], v[4:5]
	v_cmpx_eq_u64_e64 v[62:63], v[60:61]
; %bb.212:                              ;   in Loop: Header=BB0_80 Depth=2
	v_bfe_u32 v116, v4, 20, 1
	v_mov_b32_e32 v117, v65
	s_delay_alu instid0(VALU_DEP_1) | instskip(NEXT) | instid1(VALU_DEP_1)
	v_add_nc_u64_e32 v[116:117], v[4:5], v[116:117]
	v_add_nc_u64_e32 v[116:117], -1, v[116:117]
; %bb.213:                              ;   in Loop: Header=BB0_80 Depth=2
	s_or_b32 exec_lo, exec_lo, s21
	v_add_nc_u32_e32 v5, 0xffffff81, v44
	v_lshrrev_b32_e32 v117, 23, v4
	s_mov_b32 s8, exec_lo
	s_delay_alu instid0(VALU_DEP_2) | instskip(NEXT) | instid1(VALU_DEP_1)
	v_cndmask_b32_e64 v5, v5, 0xffffff82, vcc_lo
	v_add3_u32 v117, v46, v5, v117
	v_and_b32_e32 v5, 0xfffff, v116
                                        ; implicit-def: $vgpr116
	s_delay_alu instid0(VALU_DEP_1) | instskip(SKIP_1) | instid1(VALU_DEP_2)
	v_dual_add_nc_u32 v44, 6, v117 :: v_dual_add_nc_u32 v4, v5, v4
	v_mov_b32_e32 v5, v65
	v_cmpx_ne_u32_e32 0, v44
	s_xor_b32 s8, exec_lo, s8
; %bb.214:                              ;   in Loop: Header=BB0_80 Depth=2
	s_delay_alu instid0(VALU_DEP_2) | instskip(SKIP_2) | instid1(VALU_DEP_2)
	v_cmp_lt_u64_e32 vcc_lo, 0xffffff, v[4:5]
	v_add_nc_u32_e32 v116, 7, v117
	v_cndmask_b32_e64 v117, 0, 1, vcc_lo
	v_cndmask_b32_e32 v116, v44, v116, vcc_lo
	s_delay_alu instid0(VALU_DEP_2)
	v_lshrrev_b64 v[4:5], v117, v[4:5]
; %bb.215:                              ;   in Loop: Header=BB0_80 Depth=2
	s_and_not1_saveexec_b32 s8, s8
; %bb.216:                              ;   in Loop: Header=BB0_80 Depth=2
	s_delay_alu instid0(VALU_DEP_1)
	v_bfe_u32 v116, v4, 23, 1
; %bb.217:                              ;   in Loop: Header=BB0_80 Depth=2
	s_or_b32 exec_lo, exec_lo, s8
	s_delay_alu instid0(VALU_DEP_2) | instskip(NEXT) | instid1(VALU_DEP_2)
	v_lshrrev_b64 v[4:5], 20, v[4:5]
	v_cmp_gt_i32_e32 vcc_lo, 16, v116
	v_min_i32_e32 v117, 15, v116
	v_cmp_eq_u32_e64 s8, 0, v116
	s_delay_alu instid0(VALU_DEP_4) | instskip(NEXT) | instid1(VALU_DEP_3)
	v_cndmask_b32_e32 v5, 0, v5, vcc_lo
	v_dual_cndmask_b32 v4, 7, v4 :: v_dual_lshlrev_b32 v117, 3, v117
	s_delay_alu instid0(VALU_DEP_1) | instskip(NEXT) | instid1(VALU_DEP_2)
	v_and_b32_e32 v117, 0xf8, v117
	v_cmp_eq_u64_e32 vcc_lo, 0, v[4:5]
	s_delay_alu instid0(VALU_DEP_2)
	v_and_or_b32 v4, v4, 7, v117
	s_and_b32 s8, s8, vcc_lo
	s_delay_alu instid0(VALU_DEP_1) | instid1(SALU_CYCLE_1)
	v_cndmask_b32_e64 v4, v4, 0, s8
	s_delay_alu instid0(VALU_DEP_1)
	v_or_b32_e32 v44, v4, v45
.LBB0_218:                              ;   in Loop: Header=BB0_80 Depth=2
	s_or_b32 exec_lo, exec_lo, s20
                                        ; implicit-def: $vgpr45
.LBB0_219:                              ;   in Loop: Header=BB0_80 Depth=2
	s_and_not1_saveexec_b32 s8, s19
; %bb.220:                              ;   in Loop: Header=BB0_80 Depth=2
	v_or_b32_e32 v44, 0x7e, v45
; %bb.221:                              ;   in Loop: Header=BB0_80 Depth=2
	s_or_b32 exec_lo, exec_lo, s8
                                        ; implicit-def: $vgpr5
.LBB0_222:                              ;   in Loop: Header=BB0_80 Depth=2
	s_and_not1_saveexec_b32 s8, s18
; %bb.223:                              ;   in Loop: Header=BB0_80 Depth=2
	v_or_b32_e32 v44, 0x7f, v5
; %bb.224:                              ;   in Loop: Header=BB0_80 Depth=2
	s_or_b32 exec_lo, exec_lo, s8
	v_dual_lshrrev_b32 v116, 16, v64 :: v_dual_mov_b32 v4, 0
	s_mov_b32 s8, exec_lo
	s_delay_alu instid0(VALU_DEP_1) | instskip(NEXT) | instid1(VALU_DEP_1)
	v_and_b32_e32 v5, 0xff, v116
	v_cmpx_ne_u16_e32 0, v5
	s_cbranch_execz .LBB0_232
; %bb.225:                              ;   in Loop: Header=BB0_80 Depth=2
	v_bfrev_b32_e32 v4, 1
	s_mov_b32 s18, exec_lo
	v_cmpx_ne_u16_e32 0x80, v5
	s_cbranch_execz .LBB0_231
; %bb.226:                              ;   in Loop: Header=BB0_80 Depth=2
	v_bfe_u32 v45, v64, 16, 7
	v_mov_b32_e32 v4, 0x7f800001
	s_mov_b32 s19, exec_lo
	s_delay_alu instid0(VALU_DEP_2)
	v_cmpx_ne_u32_e32 0x7f, v45
	s_cbranch_execz .LBB0_230
; %bb.227:                              ;   in Loop: Header=BB0_80 Depth=2
	v_dual_mov_b32 v5, v65 :: v_dual_bitop2_b32 v4, 7, v116 bitop3:0x40
	v_lshrrev_b32_e32 v117, 3, v45
	s_mov_b32 s20, exec_lo
	v_cmpx_gt_u32_e32 8, v45
; %bb.228:                              ;   in Loop: Header=BB0_80 Depth=2
	s_delay_alu instid0(VALU_DEP_3) | instskip(NEXT) | instid1(VALU_DEP_1)
	v_clz_i32_u32_e32 v117, v4
	v_min_u32_e32 v117, 32, v117
	s_delay_alu instid0(VALU_DEP_1) | instskip(NEXT) | instid1(VALU_DEP_1)
	v_subrev_nc_u32_e32 v45, 28, v117
	v_lshlrev_b64_e32 v[4:5], v45, v[4:5]
	s_delay_alu instid0(VALU_DEP_1)
	v_dual_sub_nc_u32 v117, 29, v117 :: v_dual_bitop2_b32 v4, 7, v4 bitop3:0x40
; %bb.229:                              ;   in Loop: Header=BB0_80 Depth=2
	s_or_b32 exec_lo, exec_lo, s20
	v_lshlrev_b32_e32 v5, 24, v116
	s_delay_alu instid0(VALU_DEP_2) | instskip(NEXT) | instid1(VALU_DEP_3)
	v_lshlrev_b32_e32 v4, 20, v4
	v_lshl_add_u32 v116, v117, 23, 0x3c000000
	s_delay_alu instid0(VALU_DEP_3) | instskip(NEXT) | instid1(VALU_DEP_1)
	v_and_b32_e32 v5, 0x80000000, v5
	v_or3_b32 v4, v4, v5, v116
.LBB0_230:                              ;   in Loop: Header=BB0_80 Depth=2
	s_or_b32 exec_lo, exec_lo, s19
.LBB0_231:                              ;   in Loop: Header=BB0_80 Depth=2
	s_delay_alu instid0(SALU_CYCLE_1)
	s_or_b32 exec_lo, exec_lo, s18
.LBB0_232:                              ;   in Loop: Header=BB0_80 Depth=2
	s_delay_alu instid0(SALU_CYCLE_1) | instskip(NEXT) | instid1(VALU_DEP_1)
	s_or_b32 exec_lo, exec_lo, s8
	v_dual_mul_f32 v4, v30, v4 :: v_dual_mov_b32 v117, v65
                                        ; implicit-def: $vgpr45
	s_mov_b32 s8, exec_lo
	s_delay_alu instid0(VALU_DEP_1) | instskip(SKIP_1) | instid1(VALU_DEP_2)
	v_and_b32_e32 v116, 0x7f800000, v4
	v_lshrrev_b32_e32 v5, 24, v4
	v_cmpx_ne_u64_e32 0x7f800000, v[116:117]
	s_xor_b32 s18, exec_lo, s8
	s_cbranch_execz .LBB0_246
; %bb.233:                              ;   in Loop: Header=BB0_80 Depth=2
	v_and_b32_e32 v116, 0x7fffffff, v4
	v_mov_b32_e32 v117, v65
	v_and_b32_e32 v46, 0x80, v5
                                        ; implicit-def: $vgpr45
	s_mov_b32 s8, exec_lo
	s_delay_alu instid0(VALU_DEP_2)
	v_cmpx_gt_u64_e32 0x43e00001, v[116:117]
	s_xor_b32 s19, exec_lo, s8
	s_cbranch_execz .LBB0_243
; %bb.234:                              ;   in Loop: Header=BB0_80 Depth=2
	v_mov_b32_e32 v45, 0
	s_mov_b32 s20, exec_lo
	v_cmpx_ne_u32_e32 0, v4
	s_cbranch_execz .LBB0_242
; %bb.235:                              ;   in Loop: Header=BB0_80 Depth=2
	v_bfe_u32 v45, v4, 23, 8
	v_and_b32_e32 v116, 0x7fffff, v4
	s_mov_b32 s21, exec_lo
	s_delay_alu instid0(VALU_DEP_2) | instskip(NEXT) | instid1(VALU_DEP_2)
	v_cmp_gt_u32_e32 vcc_lo, 0x7a, v45
	v_or_b32_e32 v117, 0x800000, v116
	v_sub_nc_u32_e32 v5, 0x79, v45
	s_delay_alu instid0(VALU_DEP_1) | instskip(SKIP_1) | instid1(VALU_DEP_2)
	v_cndmask_b32_e32 v5, 0, v5, vcc_lo
	v_cmp_eq_u32_e32 vcc_lo, 0, v45
	v_cndmask_b32_e64 v47, v5, 0x78, vcc_lo
	v_cndmask_b32_e32 v116, v117, v116, vcc_lo
	s_delay_alu instid0(VALU_DEP_2) | instskip(SKIP_1) | instid1(VALU_DEP_2)
	v_dual_mov_b32 v117, v65 :: v_dual_add_nc_u32 v60, 19, v47
	v_add_nc_u32_e32 v4, 20, v47
	v_lshlrev_b64_e64 v[60:61], v60, 1
	s_delay_alu instid0(VALU_DEP_2) | instskip(NEXT) | instid1(VALU_DEP_1)
	v_lshlrev_b64_e64 v[4:5], v4, -1
	v_bfi_b32 v63, v5, 0, 0
	s_delay_alu instid0(VALU_DEP_2) | instskip(SKIP_1) | instid1(VALU_DEP_1)
	v_bfi_b32 v62, v4, 0, v116
	v_lshrrev_b64 v[4:5], v47, v[116:117]
	v_mov_b64_e32 v[116:117], v[4:5]
	s_delay_alu instid0(VALU_DEP_3)
	v_cmpx_eq_u64_e64 v[62:63], v[60:61]
; %bb.236:                              ;   in Loop: Header=BB0_80 Depth=2
	v_bfe_u32 v116, v4, 20, 1
	v_mov_b32_e32 v117, v65
	s_delay_alu instid0(VALU_DEP_1) | instskip(NEXT) | instid1(VALU_DEP_1)
	v_add_nc_u64_e32 v[116:117], v[4:5], v[116:117]
	v_add_nc_u64_e32 v[116:117], -1, v[116:117]
; %bb.237:                              ;   in Loop: Header=BB0_80 Depth=2
	s_or_b32 exec_lo, exec_lo, s21
	v_add_nc_u32_e32 v5, 0xffffff81, v45
	v_lshrrev_b32_e32 v117, 23, v4
	s_mov_b32 s8, exec_lo
	s_delay_alu instid0(VALU_DEP_2) | instskip(NEXT) | instid1(VALU_DEP_1)
	v_cndmask_b32_e64 v5, v5, 0xffffff82, vcc_lo
	v_add3_u32 v117, v47, v5, v117
	v_and_b32_e32 v5, 0xfffff, v116
                                        ; implicit-def: $vgpr116
	s_delay_alu instid0(VALU_DEP_1) | instskip(SKIP_1) | instid1(VALU_DEP_2)
	v_dual_add_nc_u32 v45, 6, v117 :: v_dual_add_nc_u32 v4, v5, v4
	v_mov_b32_e32 v5, v65
	v_cmpx_ne_u32_e32 0, v45
	s_xor_b32 s8, exec_lo, s8
; %bb.238:                              ;   in Loop: Header=BB0_80 Depth=2
	s_delay_alu instid0(VALU_DEP_2) | instskip(SKIP_2) | instid1(VALU_DEP_2)
	v_cmp_lt_u64_e32 vcc_lo, 0xffffff, v[4:5]
	v_add_nc_u32_e32 v116, 7, v117
	v_cndmask_b32_e64 v117, 0, 1, vcc_lo
	v_cndmask_b32_e32 v116, v45, v116, vcc_lo
	s_delay_alu instid0(VALU_DEP_2)
	v_lshrrev_b64 v[4:5], v117, v[4:5]
; %bb.239:                              ;   in Loop: Header=BB0_80 Depth=2
	s_and_not1_saveexec_b32 s8, s8
; %bb.240:                              ;   in Loop: Header=BB0_80 Depth=2
	s_delay_alu instid0(VALU_DEP_1)
	v_bfe_u32 v116, v4, 23, 1
; %bb.241:                              ;   in Loop: Header=BB0_80 Depth=2
	s_or_b32 exec_lo, exec_lo, s8
	s_delay_alu instid0(VALU_DEP_2) | instskip(NEXT) | instid1(VALU_DEP_2)
	v_lshrrev_b64 v[4:5], 20, v[4:5]
	v_cmp_gt_i32_e32 vcc_lo, 16, v116
	v_min_i32_e32 v117, 15, v116
	v_cmp_eq_u32_e64 s8, 0, v116
	s_delay_alu instid0(VALU_DEP_4) | instskip(NEXT) | instid1(VALU_DEP_3)
	v_cndmask_b32_e32 v5, 0, v5, vcc_lo
	v_dual_cndmask_b32 v4, 7, v4 :: v_dual_lshlrev_b32 v117, 3, v117
	s_delay_alu instid0(VALU_DEP_1) | instskip(NEXT) | instid1(VALU_DEP_2)
	v_and_b32_e32 v117, 0xf8, v117
	v_cmp_eq_u64_e32 vcc_lo, 0, v[4:5]
	s_delay_alu instid0(VALU_DEP_2)
	v_and_or_b32 v4, v4, 7, v117
	s_and_b32 s8, s8, vcc_lo
	s_delay_alu instid0(VALU_DEP_1) | instid1(SALU_CYCLE_1)
	v_cndmask_b32_e64 v4, v4, 0, s8
	s_delay_alu instid0(VALU_DEP_1)
	v_or_b32_e32 v45, v4, v46
.LBB0_242:                              ;   in Loop: Header=BB0_80 Depth=2
	s_or_b32 exec_lo, exec_lo, s20
                                        ; implicit-def: $vgpr46
.LBB0_243:                              ;   in Loop: Header=BB0_80 Depth=2
	s_and_not1_saveexec_b32 s8, s19
; %bb.244:                              ;   in Loop: Header=BB0_80 Depth=2
	v_or_b32_e32 v45, 0x7e, v46
; %bb.245:                              ;   in Loop: Header=BB0_80 Depth=2
	s_or_b32 exec_lo, exec_lo, s8
                                        ; implicit-def: $vgpr5
.LBB0_246:                              ;   in Loop: Header=BB0_80 Depth=2
	s_and_not1_saveexec_b32 s8, s18
; %bb.247:                              ;   in Loop: Header=BB0_80 Depth=2
	v_or_b32_e32 v45, 0x7f, v5
; %bb.248:                              ;   in Loop: Header=BB0_80 Depth=2
	s_or_b32 exec_lo, exec_lo, s8
	v_mov_b32_e32 v5, 0
	s_mov_b32 s8, exec_lo
	v_cmpx_lt_u32_e32 0xffffff, v64
	s_cbranch_execz .LBB0_256
; %bb.249:                              ;   in Loop: Header=BB0_80 Depth=2
	v_lshrrev_b32_e32 v4, 24, v64
	v_bfrev_b32_e32 v5, 1
	s_mov_b32 s18, exec_lo
	s_delay_alu instid0(VALU_DEP_2)
	v_cmpx_ne_u32_e32 0x80, v4
	s_cbranch_execz .LBB0_255
; %bb.250:                              ;   in Loop: Header=BB0_80 Depth=2
	v_bfe_u32 v116, v64, 24, 7
	v_mov_b32_e32 v5, 0x7f800001
	s_mov_b32 s19, exec_lo
	s_delay_alu instid0(VALU_DEP_2)
	v_cmpx_ne_u32_e32 0x7f, v116
	s_cbranch_execz .LBB0_254
; %bb.251:                              ;   in Loop: Header=BB0_80 Depth=2
	v_and_b32_e32 v64, 7, v4
	v_lshrrev_b32_e32 v5, 3, v116
	s_mov_b32 s20, exec_lo
	v_cmpx_gt_u32_e32 8, v116
; %bb.252:                              ;   in Loop: Header=BB0_80 Depth=2
	s_delay_alu instid0(VALU_DEP_3) | instskip(NEXT) | instid1(VALU_DEP_1)
	v_clz_i32_u32_e32 v5, v64
	v_min_u32_e32 v5, 32, v5
	s_delay_alu instid0(VALU_DEP_1) | instskip(NEXT) | instid1(VALU_DEP_1)
	v_subrev_nc_u32_e32 v116, 28, v5
	v_lshlrev_b64_e32 v[116:117], v116, v[64:65]
	s_delay_alu instid0(VALU_DEP_1)
	v_dual_sub_nc_u32 v5, 29, v5 :: v_dual_bitop2_b32 v64, 7, v116 bitop3:0x40
; %bb.253:                              ;   in Loop: Header=BB0_80 Depth=2
	s_or_b32 exec_lo, exec_lo, s20
	v_lshlrev_b32_e32 v4, 24, v4
	s_delay_alu instid0(VALU_DEP_2) | instskip(NEXT) | instid1(VALU_DEP_3)
	v_lshlrev_b32_e32 v64, 20, v64
	v_lshl_add_u32 v5, v5, 23, 0x3c000000
	s_delay_alu instid0(VALU_DEP_3) | instskip(NEXT) | instid1(VALU_DEP_1)
	v_and_b32_e32 v4, 0x80000000, v4
	v_or3_b32 v5, v64, v4, v5
.LBB0_254:                              ;   in Loop: Header=BB0_80 Depth=2
	s_or_b32 exec_lo, exec_lo, s19
.LBB0_255:                              ;   in Loop: Header=BB0_80 Depth=2
	s_delay_alu instid0(SALU_CYCLE_1)
	s_or_b32 exec_lo, exec_lo, s18
.LBB0_256:                              ;   in Loop: Header=BB0_80 Depth=2
	s_delay_alu instid0(SALU_CYCLE_1) | instskip(NEXT) | instid1(VALU_DEP_1)
	s_or_b32 exec_lo, exec_lo, s8
	v_mul_f32_e32 v5, v30, v5
                                        ; implicit-def: $vgpr4
	s_mov_b32 s8, exec_lo
	s_delay_alu instid0(VALU_DEP_1) | instskip(SKIP_1) | instid1(VALU_DEP_2)
	v_and_b32_e32 v64, 0x7f800000, v5
	v_lshrrev_b32_e32 v116, 24, v5
	v_cmpx_ne_u64_e32 0x7f800000, v[64:65]
	s_xor_b32 s18, exec_lo, s8
	s_cbranch_execz .LBB0_270
; %bb.257:                              ;   in Loop: Header=BB0_80 Depth=2
	v_and_b32_e32 v64, 0x7fffffff, v5
	v_and_b32_e32 v46, 0x80, v116
                                        ; implicit-def: $vgpr4
	s_mov_b32 s8, exec_lo
	s_delay_alu instid0(VALU_DEP_2)
	v_cmpx_gt_u64_e32 0x43e00001, v[64:65]
	s_xor_b32 s19, exec_lo, s8
	s_cbranch_execz .LBB0_267
; %bb.258:                              ;   in Loop: Header=BB0_80 Depth=2
	v_mov_b32_e32 v4, 0
	s_mov_b32 s20, exec_lo
	v_cmpx_ne_u32_e32 0, v5
	s_cbranch_execz .LBB0_266
; %bb.259:                              ;   in Loop: Header=BB0_80 Depth=2
	v_bfe_u32 v47, v5, 23, 8
	v_and_b32_e32 v64, 0x7fffff, v5
	s_delay_alu instid0(VALU_DEP_2) | instskip(SKIP_1) | instid1(VALU_DEP_3)
	v_sub_nc_u32_e32 v4, 0x79, v47
	v_cmp_gt_u32_e32 vcc_lo, 0x7a, v47
	v_or_b32_e32 v116, 0x800000, v64
	s_delay_alu instid0(VALU_DEP_3) | instskip(SKIP_1) | instid1(VALU_DEP_2)
	v_cndmask_b32_e32 v4, 0, v4, vcc_lo
	v_cmp_eq_u32_e32 vcc_lo, 0, v47
	v_cndmask_b32_e64 v60, v4, 0x78, vcc_lo
	s_delay_alu instid0(VALU_DEP_4) | instskip(NEXT) | instid1(VALU_DEP_2)
	v_cndmask_b32_e32 v64, v116, v64, vcc_lo
	v_dual_add_nc_u32 v4, 20, v60 :: v_dual_add_nc_u32 v117, 19, v60
	s_delay_alu instid0(VALU_DEP_1) | instskip(NEXT) | instid1(VALU_DEP_2)
	v_lshlrev_b64_e64 v[4:5], v4, -1
	v_lshlrev_b64_e64 v[116:117], v117, 1
	s_delay_alu instid0(VALU_DEP_2) | instskip(NEXT) | instid1(VALU_DEP_3)
	v_bfi_b32 v63, v5, 0, 0
	v_bfi_b32 v62, v4, 0, v64
	v_lshrrev_b64 v[4:5], v60, v[64:65]
	s_delay_alu instid0(VALU_DEP_2) | instskip(NEXT) | instid1(VALU_DEP_2)
	v_cmp_eq_u64_e64 s8, v[62:63], v[116:117]
	v_mov_b64_e32 v[116:117], v[4:5]
	s_and_saveexec_b32 s21, s8
; %bb.260:                              ;   in Loop: Header=BB0_80 Depth=2
	v_bfe_u32 v64, v4, 20, 1
	s_delay_alu instid0(VALU_DEP_1) | instskip(NEXT) | instid1(VALU_DEP_1)
	v_add_nc_u64_e32 v[116:117], v[4:5], v[64:65]
	v_add_nc_u64_e32 v[116:117], -1, v[116:117]
; %bb.261:                              ;   in Loop: Header=BB0_80 Depth=2
	s_or_b32 exec_lo, exec_lo, s21
	v_add_nc_u32_e32 v5, 0xffffff81, v47
	v_lshrrev_b32_e32 v64, 23, v4
	s_mov_b32 s8, exec_lo
	s_delay_alu instid0(VALU_DEP_2) | instskip(NEXT) | instid1(VALU_DEP_1)
	v_cndmask_b32_e64 v5, v5, 0xffffff82, vcc_lo
	v_add3_u32 v117, v60, v5, v64
	v_and_b32_e32 v5, 0xfffff, v116
                                        ; implicit-def: $vgpr116
	s_delay_alu instid0(VALU_DEP_1) | instskip(NEXT) | instid1(VALU_DEP_1)
	v_dual_add_nc_u32 v47, 6, v117 :: v_dual_add_nc_u32 v64, v5, v4
                                        ; implicit-def: $vgpr4_vgpr5
	v_cmpx_ne_u32_e32 0, v47
	s_xor_b32 s8, exec_lo, s8
; %bb.262:                              ;   in Loop: Header=BB0_80 Depth=2
	s_delay_alu instid0(VALU_DEP_2) | instskip(SKIP_1) | instid1(VALU_DEP_1)
	v_cmp_lt_u64_e32 vcc_lo, 0xffffff, v[64:65]
	v_add_nc_u32_e32 v4, 7, v117
	v_cndmask_b32_e32 v116, v47, v4, vcc_lo
	v_cndmask_b32_e64 v4, 0, 1, vcc_lo
	s_delay_alu instid0(VALU_DEP_1)
	v_lshrrev_b64 v[4:5], v4, v[64:65]
; %bb.263:                              ;   in Loop: Header=BB0_80 Depth=2
	s_and_not1_saveexec_b32 s8, s8
; %bb.264:                              ;   in Loop: Header=BB0_80 Depth=2
	v_mov_b64_e32 v[4:5], v[64:65]
	v_bfe_u32 v116, v64, 23, 1
; %bb.265:                              ;   in Loop: Header=BB0_80 Depth=2
	s_or_b32 exec_lo, exec_lo, s8
	s_delay_alu instid0(VALU_DEP_2) | instskip(NEXT) | instid1(VALU_DEP_2)
	v_lshrrev_b64 v[4:5], 20, v[4:5]
	v_cmp_gt_i32_e32 vcc_lo, 16, v116
	v_min_i32_e32 v64, 15, v116
	v_cmp_eq_u32_e64 s8, 0, v116
	s_delay_alu instid0(VALU_DEP_2) | instskip(SKIP_1) | instid1(VALU_DEP_2)
	v_dual_cndmask_b32 v5, 0, v5 :: v_dual_lshlrev_b32 v64, 3, v64
	v_cndmask_b32_e32 v4, 7, v4, vcc_lo
	v_and_b32_e32 v64, 0xf8, v64
	s_delay_alu instid0(VALU_DEP_2) | instskip(NEXT) | instid1(VALU_DEP_2)
	v_cmp_eq_u64_e32 vcc_lo, 0, v[4:5]
	v_and_or_b32 v4, v4, 7, v64
	s_and_b32 s8, s8, vcc_lo
	s_delay_alu instid0(VALU_DEP_1) | instid1(SALU_CYCLE_1)
	v_cndmask_b32_e64 v4, v4, 0, s8
	s_delay_alu instid0(VALU_DEP_1)
	v_or_b32_e32 v4, v4, v46
.LBB0_266:                              ;   in Loop: Header=BB0_80 Depth=2
	s_or_b32 exec_lo, exec_lo, s20
                                        ; implicit-def: $vgpr46
.LBB0_267:                              ;   in Loop: Header=BB0_80 Depth=2
	s_and_not1_saveexec_b32 s8, s19
; %bb.268:                              ;   in Loop: Header=BB0_80 Depth=2
	v_or_b32_e32 v4, 0x7e, v46
; %bb.269:                              ;   in Loop: Header=BB0_80 Depth=2
	s_or_b32 exec_lo, exec_lo, s8
                                        ; implicit-def: $vgpr116
.LBB0_270:                              ;   in Loop: Header=BB0_80 Depth=2
	s_and_not1_saveexec_b32 s8, s18
	s_cbranch_execz .LBB0_79
; %bb.271:                              ;   in Loop: Header=BB0_80 Depth=2
	v_or_b32_e32 v4, 0x7f, v116
	s_branch .LBB0_79
.LBB0_272:                              ;   in Loop: Header=BB0_42 Depth=1
	s_or_b32 exec_lo, exec_lo, s17
.LBB0_273:                              ;   in Loop: Header=BB0_42 Depth=1
	s_delay_alu instid0(SALU_CYCLE_1) | instskip(SKIP_2) | instid1(VALU_DEP_2)
	s_or_b32 exec_lo, exec_lo, s16
	v_and_b32_e32 v64, 0x7ffffff8, v16
	v_cmp_gt_i32_e64 s8, s13, v18
	v_cmp_eq_u64_e32 vcc_lo, 0x7ffffff8, v[64:65]
	s_and_b32 s16, vcc_lo, s8
	s_delay_alu instid0(SALU_CYCLE_1)
	s_and_saveexec_b32 s8, s16
	s_cbranch_execz .LBB0_276
; %bb.274:                              ;   in Loop: Header=BB0_42 Depth=1
	v_mul_lo_u32 v4, v19, s13
	v_mov_b32_e32 v2, v65
	s_mov_b32 s16, 0
	s_delay_alu instid0(VALU_DEP_2) | instskip(NEXT) | instid1(VALU_DEP_1)
	v_dual_ashrrev_i32 v19, 31, v18 :: v_dual_ashrrev_i32 v5, 31, v4
	v_lshlrev_b64_e32 v[4:5], 4, v[4:5]
	s_delay_alu instid0(VALU_DEP_1) | instskip(NEXT) | instid1(VALU_DEP_1)
	v_lshl_add_u64 v[4:5], v[18:19], 4, v[4:5]
	v_add_nc_u64_e32 v[112:113], v[36:37], v[4:5]
.LBB0_275:                              ;   Parent Loop BB0_42 Depth=1
                                        ; =>  This Inner Loop Header: Depth=2
	v_dual_mov_b32 v4, v2 :: v_dual_mov_b32 v5, v3
	v_add_nc_u32_e32 v18, v18, v20
	global_store_b128 v[112:113], v[2:5], off
	v_cmp_le_i32_e32 vcc_lo, s13, v18
	s_wait_xcnt 0x0
	v_add_nc_u64_e32 v[112:113], v[112:113], v[102:103]
	s_or_b32 s16, vcc_lo, s16
	s_delay_alu instid0(SALU_CYCLE_1)
	s_and_not1_b32 exec_lo, exec_lo, s16
	s_cbranch_execnz .LBB0_275
.LBB0_276:                              ;   in Loop: Header=BB0_42 Depth=1
	s_or_b32 exec_lo, exec_lo, s8
	v_add_nc_u64_e32 v[112:113], v[80:81], v[24:25]
	s_wait_loadcnt_dscnt 0x0
	v_add_nc_u64_e32 v[114:115], 1, v[16:17]
	s_and_not1_b32 vcc_lo, exec_lo, s15
	s_cbranch_vccnz .LBB0_794
; %bb.277:                              ;   in Loop: Header=BB0_42 Depth=1
	s_delay_alu instid0(VALU_DEP_2)
	v_add_nc_u64_e32 v[116:117], v[96:97], v[112:113]
	v_add_nc_u16 v60, v16, 1
	s_mov_b32 s16, 2
	s_branch .LBB0_279
.LBB0_278:                              ;   in Loop: Header=BB0_279 Depth=2
	s_or_b32 exec_lo, exec_lo, s8
	v_add_nc_u64_e32 v[34:35], 1, v[34:35]
	v_add_nc_u64_e32 v[114:115], 1, v[114:115]
	v_add_nc_u16 v60, v60, 1
	s_add_co_i32 s16, s16, 1
	s_delay_alu instid0(SALU_CYCLE_1)
	s_cmp_eq_u32 s16, s10
	s_cbranch_scc1 .LBB0_794
.LBB0_279:                              ;   Parent Loop BB0_42 Depth=1
                                        ; =>  This Loop Header: Depth=2
                                        ;       Child Loop BB0_284 Depth 3
                                        ;       Child Loop BB0_303 Depth 3
	;; [unrolled: 1-line block ×3, first 2 shown]
                                        ;         Child Loop BB0_331 Depth 4
                                        ;       Child Loop BB0_783 Depth 3
                                        ;       Child Loop BB0_320 Depth 3
	s_sub_co_i32 s8, s10, s16
	v_readfirstlane_b32 s18, v22
	v_mov_b32_e32 v2, s8
	v_readfirstlane_b32 s19, v23
	flat_load_b32 v4, v2, s[18:19] scale_offset
	s_wait_xcnt 0x0
	s_and_saveexec_b32 s17, s1
	s_cbranch_execz .LBB0_295
; %bb.280:                              ;   in Loop: Header=BB0_279 Depth=2
	v_add_nc_u64_e32 v[2:3], 1, v[14:15]
	v_add_nc_u64_e32 v[16:17], 8, v[54:55]
	s_mov_b32 s18, exec_lo
	s_delay_alu instid0(VALU_DEP_1)
	v_cmpx_lt_u64_e64 v[16:17], v[2:3]
	s_cbranch_execz .LBB0_292
; %bb.281:                              ;   in Loop: Header=BB0_279 Depth=2
	s_mov_b32 s19, 0
	s_mov_b32 s23, 0
	v_cmp_eq_u32_e32 vcc_lo, 0, v21
                                        ; implicit-def: $sgpr20
                                        ; implicit-def: $sgpr21
                                        ; implicit-def: $sgpr22
	s_branch .LBB0_284
.LBB0_282:                              ;   in Loop: Header=BB0_284 Depth=3
	s_or_b32 exec_lo, exec_lo, s28
	s_delay_alu instid0(SALU_CYCLE_1)
	s_and_not1_b32 s8, s22, exec_lo
	s_and_b32 s22, s26, exec_lo
	s_and_not1_b32 s21, s21, exec_lo
	s_and_b32 s25, s25, exec_lo
	s_or_b32 s22, s8, s22
	s_or_b32 s21, s21, s25
.LBB0_283:                              ;   in Loop: Header=BB0_284 Depth=3
	s_or_b32 exec_lo, exec_lo, s24
	s_delay_alu instid0(SALU_CYCLE_1) | instskip(NEXT) | instid1(SALU_CYCLE_1)
	s_and_b32 s8, exec_lo, s21
	s_or_b32 s19, s8, s19
	s_and_not1_b32 s8, s20, exec_lo
	s_and_b32 s20, s22, exec_lo
	s_delay_alu instid0(SALU_CYCLE_1)
	s_or_b32 s20, s8, s20
	s_and_not1_b32 exec_lo, exec_lo, s19
	s_cbranch_execz .LBB0_289
.LBB0_284:                              ;   Parent Loop BB0_42 Depth=1
                                        ;     Parent Loop BB0_279 Depth=2
                                        ; =>    This Inner Loop Header: Depth=3
	s_sleep 1
	s_wait_loadcnt_dscnt 0x0
	flat_load_b64 v[54:55], v[50:51] scope:SCOPE_DEV
	v_mov_b32_e32 v21, 1
	s_or_b32 s22, s22, exec_lo
	s_or_b32 s21, s21, exec_lo
                                        ; implicit-def: $vgpr5
	s_wait_xcnt 0x0
	s_and_saveexec_b32 s24, vcc_lo
	s_cbranch_execz .LBB0_283
; %bb.285:                              ;   in Loop: Header=BB0_284 Depth=3
	s_add_co_i32 s23, s23, 1
	s_mov_b32 s25, -1
	s_cmp_lg_u32 s23, 0x2710
	s_mov_b32 s26, -1
	s_cselect_b32 s27, -1, 0
	s_cmp_eq_u32 s23, 0x2710
                                        ; implicit-def: $vgpr5
	s_cbranch_scc1 .LBB0_287
; %bb.286:                              ;   in Loop: Header=BB0_284 Depth=3
	v_mov_b32_e32 v21, 1
	s_and_saveexec_b32 s28, s27
	s_cbranch_execz .LBB0_282
	s_branch .LBB0_288
.LBB0_287:                              ;   in Loop: Header=BB0_284 Depth=3
	s_trap 2
	ds_load_b64 v[16:17], v0
	s_and_not1_b32 s23, s27, exec_lo
	s_mov_b32 s26, 0
	s_wait_storecnt 0x0
	s_wait_loadcnt_dscnt 0x0
	flat_load_b32 v5, v[16:17] scope:SCOPE_SYS
	s_wait_loadcnt_dscnt 0x0
	global_inv scope:SCOPE_SYS
	v_cmp_eq_u32_e64 s8, 0, v5
	s_and_b32 s8, s8, exec_lo
	s_delay_alu instid0(SALU_CYCLE_1)
	s_or_b32 s27, s23, s8
	s_mov_b32 s23, 0
	v_mov_b32_e32 v21, 1
	s_and_saveexec_b32 s28, s27
	s_cbranch_execz .LBB0_282
.LBB0_288:                              ;   in Loop: Header=BB0_284 Depth=3
	s_wait_loadcnt_dscnt 0x0
	v_add_nc_u64_e32 v[16:17], 8, v[54:55]
	v_mov_b32_e32 v21, 0
	s_or_b32 s26, s26, exec_lo
	s_delay_alu instid0(VALU_DEP_2)
	v_cmp_ge_u64_e64 s8, v[16:17], v[2:3]
	s_or_not1_b32 s25, s8, exec_lo
	s_branch .LBB0_282
.LBB0_289:                              ;   in Loop: Header=BB0_279 Depth=2
	s_or_b32 exec_lo, exec_lo, s19
	s_xor_b32 s8, s20, -1
	s_delay_alu instid0(SALU_CYCLE_1) | instskip(NEXT) | instid1(SALU_CYCLE_1)
	s_and_saveexec_b32 s19, s8
	s_xor_b32 s8, exec_lo, s19
	s_cbranch_execz .LBB0_291
; %bb.290:                              ;   in Loop: Header=BB0_279 Depth=2
	v_mov_b32_e32 v21, 1
	s_wait_storecnt 0x0
	s_wait_loadcnt_dscnt 0x0
	ds_store_b32 v0, v5
	s_trap 2
.LBB0_291:                              ;   in Loop: Header=BB0_279 Depth=2
	s_or_b32 exec_lo, exec_lo, s8
.LBB0_292:                              ;   in Loop: Header=BB0_279 Depth=2
	s_delay_alu instid0(SALU_CYCLE_1)
	s_or_b32 exec_lo, exec_lo, s18
	s_and_saveexec_b32 s8, s2
	s_cbranch_execz .LBB0_294
; %bb.293:                              ;   in Loop: Header=BB0_279 Depth=2
	v_and_b32_e32 v64, 0x7ffffff8, v14
	s_delay_alu instid0(VALU_DEP_1) | instskip(SKIP_1) | instid1(VALU_DEP_1)
	v_cmp_eq_u64_e32 vcc_lo, 0x7ffffff8, v[64:65]
	v_cndmask_b32_e64 v16, v59, s11, vcc_lo
	v_dual_ashrrev_i32 v17, 31, v16 :: v_dual_bitop2_b32 v5, 7, v14 bitop3:0x40
	s_delay_alu instid0(VALU_DEP_1)
	v_mad_nc_u64_u32 v[14:15], v5, 24, v[12:13]
	flat_store_b64 v[14:15], v[16:17] offset:8 scope:SCOPE_SYS
	s_wait_storecnt 0x0
.LBB0_294:                              ;   in Loop: Header=BB0_279 Depth=2
	s_wait_xcnt 0x0
	s_or_b32 exec_lo, exec_lo, s8
	v_mov_b64_e32 v[14:15], v[2:3]
.LBB0_295:                              ;   in Loop: Header=BB0_279 Depth=2
	s_or_b32 exec_lo, exec_lo, s17
	s_and_saveexec_b32 s8, s3
	s_cbranch_execz .LBB0_314
; %bb.296:                              ;   in Loop: Header=BB0_279 Depth=2
	s_and_saveexec_b32 s17, s4
	s_delay_alu instid0(SALU_CYCLE_1)
	s_xor_b32 s17, exec_lo, s17
	s_cbranch_execz .LBB0_311
; %bb.297:                              ;   in Loop: Header=BB0_279 Depth=2
	s_and_saveexec_b32 s18, s5
	s_cbranch_execz .LBB0_310
; %bb.298:                              ;   in Loop: Header=BB0_279 Depth=2
	s_mov_b32 s20, exec_lo
	s_mov_b32 s19, exec_lo
	v_mbcnt_lo_u32_b32 v2, s20, 0
	global_wb scope:SCOPE_DEV
	s_wait_storecnt 0x0
	s_wait_loadcnt_dscnt 0x0
	global_inv scope:SCOPE_DEV
	v_cmpx_eq_u32_e32 0, v2
	s_cbranch_execz .LBB0_300
; %bb.299:                              ;   in Loop: Header=BB0_279 Depth=2
	s_bcnt1_i32_b32 s20, s20
	s_delay_alu instid0(SALU_CYCLE_1)
	v_mov_b32_e32 v64, s20
	s_wait_loadcnt 0x0
	ds_add_u64 v0, v[64:65]
	s_trap 2
.LBB0_300:                              ;   in Loop: Header=BB0_279 Depth=2
	s_or_b32 exec_lo, exec_lo, s19
	s_trap 2
	ds_load_b64 v[2:3], v0
	s_wait_dscnt 0x0
	v_add_nc_u64_e32 v[52:53], v[52:53], v[82:83]
	s_mov_b32 s19, exec_lo
	s_delay_alu instid0(VALU_DEP_1)
	v_cmpx_lt_u64_e64 v[2:3], v[52:53]
	s_cbranch_execz .LBB0_309
; %bb.301:                              ;   in Loop: Header=BB0_279 Depth=2
	s_mov_b32 s20, 0
	s_mov_b32 s23, 0
                                        ; implicit-def: $sgpr21
                                        ; implicit-def: $sgpr22
	s_branch .LBB0_303
.LBB0_302:                              ;   in Loop: Header=BB0_303 Depth=3
	s_or_b32 exec_lo, exec_lo, s25
	s_delay_alu instid0(SALU_CYCLE_1) | instskip(NEXT) | instid1(SALU_CYCLE_1)
	s_and_b32 s24, exec_lo, s26
	s_or_b32 s20, s24, s20
	s_and_not1_b32 s21, s21, exec_lo
	s_and_b32 s24, s22, exec_lo
	s_delay_alu instid0(SALU_CYCLE_1)
	s_or_b32 s21, s21, s24
	s_and_not1_b32 exec_lo, exec_lo, s20
	s_cbranch_execz .LBB0_307
.LBB0_303:                              ;   Parent Loop BB0_42 Depth=1
                                        ;     Parent Loop BB0_279 Depth=2
                                        ; =>    This Inner Loop Header: Depth=3
	s_add_co_i32 s23, s23, 1
	s_delay_alu instid0(SALU_CYCLE_1) | instskip(SKIP_1) | instid1(SALU_CYCLE_1)
	s_cmp_lg_u32 s23, 0x2710
	s_cselect_b32 s24, -1, 0
	s_and_b32 vcc_lo, exec_lo, s24
	s_cbranch_vccz .LBB0_305
; %bb.304:                              ;   in Loop: Header=BB0_303 Depth=3
	s_mov_b32 s26, -1
	s_or_b32 s22, s22, exec_lo
	s_and_saveexec_b32 s25, s24
	s_cbranch_execz .LBB0_302
	s_branch .LBB0_306
.LBB0_305:                              ;   in Loop: Header=BB0_303 Depth=3
	s_trap 2
	ds_load_b64 v[2:3], v0
	s_and_not1_b32 s24, s24, exec_lo
	s_mov_b32 s23, 0
	s_wait_loadcnt_dscnt 0x0
	flat_load_b32 v2, v[2:3] scope:SCOPE_SYS
	s_wait_loadcnt_dscnt 0x0
	global_inv scope:SCOPE_SYS
	v_cmp_eq_u32_e32 vcc_lo, 0, v2
	s_and_b32 s25, vcc_lo, exec_lo
	s_delay_alu instid0(SALU_CYCLE_1)
	s_or_b32 s24, s24, s25
	s_mov_b32 s26, -1
	s_or_b32 s22, s22, exec_lo
	s_and_saveexec_b32 s25, s24
	s_cbranch_execz .LBB0_302
.LBB0_306:                              ;   in Loop: Header=BB0_303 Depth=3
	s_sleep 1
	s_trap 2
	ds_load_b64 v[2:3], v0
	s_wait_dscnt 0x0
	s_and_not1_b32 s22, s22, exec_lo
	v_cmp_ge_u64_e32 vcc_lo, v[2:3], v[52:53]
	s_or_not1_b32 s26, vcc_lo, exec_lo
	s_branch .LBB0_302
.LBB0_307:                              ;   in Loop: Header=BB0_279 Depth=2
	s_or_b32 exec_lo, exec_lo, s20
	s_and_saveexec_b32 s20, s21
	s_delay_alu instid0(SALU_CYCLE_1)
	s_xor_b32 s20, exec_lo, s20
	s_cbranch_execz .LBB0_309
; %bb.308:                              ;   in Loop: Header=BB0_279 Depth=2
	ds_store_b32 v0, v1
	s_trap 2
.LBB0_309:                              ;   in Loop: Header=BB0_279 Depth=2
	s_or_b32 exec_lo, exec_lo, s19
	;;#ASMSTART
	s_wakeup
	;;#ASMEND
.LBB0_310:                              ;   in Loop: Header=BB0_279 Depth=2
	s_or_b32 exec_lo, exec_lo, s18
.LBB0_311:                              ;   in Loop: Header=BB0_279 Depth=2
	s_and_not1_saveexec_b32 s17, s17
	s_cbranch_execz .LBB0_313
; %bb.312:                              ;   in Loop: Header=BB0_279 Depth=2
	global_wb scope:SCOPE_DEV
	s_wait_storecnt 0x0
	s_wait_loadcnt_dscnt 0x0
	global_inv scope:SCOPE_DEV
	s_barrier_signal -1
	s_barrier_wait -1
.LBB0_313:                              ;   in Loop: Header=BB0_279 Depth=2
	s_or_b32 exec_lo, exec_lo, s17
.LBB0_314:                              ;   in Loop: Header=BB0_279 Depth=2
	s_delay_alu instid0(SALU_CYCLE_1)
	s_or_b32 exec_lo, exec_lo, s8
	v_dual_mov_b32 v64, v0 :: v_dual_add_nc_u32 v3, 1, v114
	s_and_saveexec_b32 s17, s7
	s_cbranch_execnz .LBB0_321
; %bb.315:                              ;   in Loop: Header=BB0_279 Depth=2
	s_or_b32 exec_lo, exec_lo, s17
	s_and_saveexec_b32 s8, s3
	s_cbranch_execnz .LBB0_776
.LBB0_316:                              ;   in Loop: Header=BB0_279 Depth=2
	s_or_b32 exec_lo, exec_lo, s8
	s_and_saveexec_b32 s8, s6
	s_cbranch_execz .LBB0_318
.LBB0_317:                              ;   in Loop: Header=BB0_279 Depth=2
	v_add_nc_u64_e32 v[38:39], 1, v[38:39]
	global_wb scope:SCOPE_SYS
	s_wait_storecnt 0x0
	s_wait_loadcnt_dscnt 0x0
	flat_store_b64 v[48:49], v[38:39] scope:SCOPE_SYS
.LBB0_318:                              ;   in Loop: Header=BB0_279 Depth=2
	s_wait_xcnt 0x0
	s_or_b32 exec_lo, exec_lo, s8
	s_wait_loadcnt_dscnt 0x0
	v_and_b32_e32 v4, 0x7ffffff8, v114
	v_mov_b32_e32 v5, v65
	v_cmp_gt_i32_e64 s8, s13, v64
	s_delay_alu instid0(VALU_DEP_2) | instskip(SKIP_1) | instid1(SALU_CYCLE_1)
	v_cmp_eq_u64_e32 vcc_lo, 0x7ffffff8, v[4:5]
	s_and_b32 s17, vcc_lo, s8
	s_and_saveexec_b32 s8, s17
	s_cbranch_execz .LBB0_278
; %bb.319:                              ;   in Loop: Header=BB0_279 Depth=2
	v_dual_mov_b32 v16, v64 :: v_dual_bitop2_b32 v2, 7, v60 bitop3:0x40
	v_ashrrev_i32_e32 v17, 31, v64
	s_mov_b32 s17, 0
	s_delay_alu instid0(VALU_DEP_2) | instskip(NEXT) | instid1(VALU_DEP_1)
	v_mul_lo_u32 v4, s13, v2
	v_dual_mov_b32 v2, v65 :: v_dual_ashrrev_i32 v5, 31, v4
	s_delay_alu instid0(VALU_DEP_1) | instskip(NEXT) | instid1(VALU_DEP_1)
	v_lshlrev_b64_e32 v[4:5], 4, v[4:5]
	v_lshl_add_u64 v[4:5], v[16:17], 4, v[4:5]
	s_delay_alu instid0(VALU_DEP_1)
	v_add_nc_u64_e32 v[16:17], v[36:37], v[4:5]
.LBB0_320:                              ;   Parent Loop BB0_42 Depth=1
                                        ;     Parent Loop BB0_279 Depth=2
                                        ; =>    This Inner Loop Header: Depth=3
	s_delay_alu instid0(VALU_DEP_4) | instskip(SKIP_1) | instid1(VALU_DEP_2)
	v_dual_mov_b32 v4, v2 :: v_dual_add_nc_u32 v64, v64, v20
	v_mov_b32_e32 v5, v3
	v_cmp_le_i32_e32 vcc_lo, s13, v64
	global_store_b128 v[16:17], v[2:5], off
	s_wait_xcnt 0x0
	v_add_nc_u64_e32 v[16:17], v[16:17], v[102:103]
	s_or_b32 s17, vcc_lo, s17
	s_delay_alu instid0(SALU_CYCLE_1)
	s_and_not1_b32 exec_lo, exec_lo, s17
	s_cbranch_execnz .LBB0_320
	s_branch .LBB0_278
.LBB0_321:                              ;   in Loop: Header=BB0_279 Depth=2
	v_and_b32_e32 v2, 7, v34
	s_wait_loadcnt_dscnt 0x0
	v_mad_nc_u64_u32 v[118:119], v68, v4, v[116:117]
	v_dual_mov_b32 v64, v0 :: v_dual_add_nc_u32 v61, 1, v34
	s_mov_b32 s18, 0
	v_mul_lo_u32 v16, v2, s13
	v_dual_mov_b32 v62, v58 :: v_dual_bitop2_b32 v5, 7, v114 bitop3:0x40
	s_delay_alu instid0(VALU_DEP_4) | instskip(SKIP_1) | instid1(VALU_DEP_4)
	v_mad_u32 v2, v69, v4, v119
	v_ashrrev_i32_e32 v4, 31, v4
	v_ashrrev_i32_e32 v17, 31, v16
	s_delay_alu instid0(VALU_DEP_4) | instskip(NEXT) | instid1(VALU_DEP_2)
	v_mul_lo_u32 v18, v5, s13
	v_lshl_add_u64 v[40:41], v[16:17], 4, v[32:33]
	s_delay_alu instid0(VALU_DEP_4) | instskip(NEXT) | instid1(VALU_DEP_3)
	v_mad_u32 v119, v68, v4, v2
	v_ashrrev_i32_e32 v19, 31, v18
	s_delay_alu instid0(VALU_DEP_1)
	v_lshl_add_u64 v[42:43], v[18:19], 4, v[36:37]
	s_branch .LBB0_323
.LBB0_322:                              ;   in Loop: Header=BB0_323 Depth=3
	s_or_b32 exec_lo, exec_lo, s8
	v_dual_lshlrev_b32 v5, 8, v72 :: v_dual_lshlrev_b32 v16, 16, v46
	v_dual_lshlrev_b32 v17, 8, v63 :: v_dual_lshlrev_b32 v18, 16, v44
	;; [unrolled: 1-line block ×3, first 2 shown]
	s_delay_alu instid0(VALU_DEP_3) | instskip(SKIP_1) | instid1(VALU_DEP_4)
	v_or3_b32 v2, v5, v2, v16
	v_sub_nc_u32_e32 v62, v62, v86
	v_or3_b32 v5, v17, v19, v18
	v_add_nc_u64_e32 v[118:119], v[118:119], v[86:87]
	v_lshl_add_u64 v[16:17], v[64:65], 4, v[42:43]
	v_or3_b32 v2, v2, v44, 0
	v_add_nc_u32_e32 v64, v64, v20
	v_or3_b32 v4, v5, v4, 0
	v_mov_b32_e32 v5, v3
	v_cmp_gt_i32_e32 vcc_lo, 1, v62
	global_store_b128 v[16:17], v[2:5], off
	s_or_b32 s18, vcc_lo, s18
	s_wait_xcnt 0x0
	s_and_not1_b32 exec_lo, exec_lo, s18
	s_cbranch_execz .LBB0_775
.LBB0_323:                              ;   Parent Loop BB0_42 Depth=1
                                        ;     Parent Loop BB0_279 Depth=2
                                        ; =>    This Loop Header: Depth=3
                                        ;         Child Loop BB0_331 Depth 4
	s_delay_alu instid0(VALU_DEP_3)
	v_dual_mov_b32 v5, v119 :: v_dual_bitop2_b32 v4, -4, v118 bitop3:0x40
	v_min_u32_e32 v16, 8, v62
	v_dual_mov_b32 v63, 0 :: v_dual_bitop2_b32 v17, 3, v118 bitop3:0x40
	v_mov_b32_e32 v73, 0
	global_load_b32 v2, v[4:5], off th:TH_LOAD_NT
	s_mov_b32 s8, exec_lo
	v_add_nc_u32_e32 v16, v17, v16
	s_wait_xcnt 0x0
	s_delay_alu instid0(VALU_DEP_1)
	v_cmpx_lt_u32_e32 4, v16
	s_cbranch_execz .LBB0_325
; %bb.324:                              ;   in Loop: Header=BB0_323 Depth=3
	global_load_b32 v73, v[4:5], off offset:4 th:TH_LOAD_NT
.LBB0_325:                              ;   in Loop: Header=BB0_323 Depth=3
	s_wait_xcnt 0x0
	s_or_b32 exec_lo, exec_lo, s8
	v_mov_b32_e32 v17, v65
	s_mov_b32 s8, exec_lo
	s_delay_alu instid0(VALU_DEP_1)
	v_cmpx_lt_u64_e32 8, v[16:17]
	s_cbranch_execz .LBB0_327
; %bb.326:                              ;   in Loop: Header=BB0_323 Depth=3
	global_load_b32 v63, v[4:5], off offset:8 th:TH_LOAD_NT
.LBB0_327:                              ;   in Loop: Header=BB0_323 Depth=3
	s_wait_xcnt 0x0
	s_or_b32 exec_lo, exec_lo, s8
	v_lshl_add_u64 v[4:5], v[64:65], 4, v[40:41]
	v_cmp_eq_u32_e32 vcc_lo, 0, v21
	v_mov_b32_e32 v21, 1
	global_load_b128 v[16:19], v[4:5], off th:TH_LOAD_NT
	s_wait_xcnt 0x0
	s_and_saveexec_b32 s19, vcc_lo
	s_cbranch_execz .LBB0_339
; %bb.328:                              ;   in Loop: Header=BB0_323 Depth=3
	s_wait_loadcnt 0x0
	v_cmp_ne_u32_e32 vcc_lo, v61, v17
	v_cmp_ne_u32_e64 s8, v61, v19
	v_mov_b32_e32 v21, 0
	s_or_b32 s8, vcc_lo, s8
	s_delay_alu instid0(SALU_CYCLE_1)
	s_and_saveexec_b32 s20, s8
	s_cbranch_execz .LBB0_338
; %bb.329:                              ;   in Loop: Header=BB0_323 Depth=3
	s_mov_b32 s24, 1
	s_mov_b32 s22, 0
                                        ; implicit-def: $sgpr21
                                        ; implicit-def: $sgpr23
	s_branch .LBB0_331
.LBB0_330:                              ;   in Loop: Header=BB0_331 Depth=4
	s_or_b32 exec_lo, exec_lo, s26
	s_delay_alu instid0(SALU_CYCLE_1) | instskip(NEXT) | instid1(SALU_CYCLE_1)
	s_and_b32 s8, exec_lo, s8
	s_or_b32 s22, s8, s22
	s_and_not1_b32 s8, s21, exec_lo
	s_and_b32 s21, s23, exec_lo
	s_delay_alu instid0(SALU_CYCLE_1)
	s_or_b32 s21, s8, s21
	s_and_not1_b32 exec_lo, exec_lo, s22
	s_cbranch_execz .LBB0_335
.LBB0_331:                              ;   Parent Loop BB0_42 Depth=1
                                        ;     Parent Loop BB0_279 Depth=2
                                        ;       Parent Loop BB0_323 Depth=3
                                        ; =>      This Inner Loop Header: Depth=4
	s_wait_loadcnt 0x0
	global_load_b128 v[16:19], v[4:5], off th:TH_LOAD_NT
	s_add_co_i32 s24, s24, 1
	s_mov_b32 s8, -1
	s_cmp_lg_u32 s24, 0x2710
	s_mov_b32 s25, -1
                                        ; implicit-def: $vgpr44
	s_cbranch_scc0 .LBB0_333
; %bb.332:                              ;   in Loop: Header=BB0_331 Depth=4
	s_or_b32 s23, s23, exec_lo
	s_wait_xcnt 0x0
	s_and_saveexec_b32 s26, s25
	s_cbranch_execz .LBB0_330
	s_branch .LBB0_334
.LBB0_333:                              ;   in Loop: Header=BB0_331 Depth=4
	s_trap 2
	ds_load_b64 v[44:45], v0
	s_mov_b32 s24, 0
	s_wait_storecnt 0x0
	s_wait_loadcnt_dscnt 0x0
	flat_load_b32 v44, v[44:45] scope:SCOPE_SYS
	s_wait_loadcnt_dscnt 0x0
	global_inv scope:SCOPE_SYS
	v_cmp_eq_u32_e32 vcc_lo, 0, v44
	s_or_not1_b32 s25, vcc_lo, exec_lo
	s_or_b32 s23, s23, exec_lo
	s_wait_xcnt 0x0
	s_and_saveexec_b32 s26, s25
	s_cbranch_execz .LBB0_330
.LBB0_334:                              ;   in Loop: Header=BB0_331 Depth=4
	s_wait_loadcnt 0x0
	v_cmp_eq_u32_e32 vcc_lo, v61, v17
	v_cmp_eq_u32_e64 s8, v61, v19
	s_and_not1_b32 s23, s23, exec_lo
	s_and_b32 s8, vcc_lo, s8
	s_delay_alu instid0(SALU_CYCLE_1)
	s_or_not1_b32 s8, s8, exec_lo
	s_branch .LBB0_330
.LBB0_335:                              ;   in Loop: Header=BB0_323 Depth=3
	s_or_b32 exec_lo, exec_lo, s22
	v_mov_b32_e32 v21, 0
	s_and_saveexec_b32 s8, s21
	s_delay_alu instid0(SALU_CYCLE_1)
	s_xor_b32 s8, exec_lo, s8
	s_cbranch_execz .LBB0_337
; %bb.336:                              ;   in Loop: Header=BB0_323 Depth=3
	v_mov_b32_e32 v21, 1
	s_wait_loadcnt 0x0
	s_wait_storecnt 0x0
	ds_store_b32 v0, v44
	s_trap 2
.LBB0_337:                              ;   in Loop: Header=BB0_323 Depth=3
	s_or_b32 exec_lo, exec_lo, s8
.LBB0_338:                              ;   in Loop: Header=BB0_323 Depth=3
	s_delay_alu instid0(SALU_CYCLE_1)
	s_or_b32 exec_lo, exec_lo, s20
.LBB0_339:                              ;   in Loop: Header=BB0_323 Depth=3
	s_delay_alu instid0(SALU_CYCLE_1) | instskip(SKIP_3) | instid1(VALU_DEP_1)
	s_or_b32 exec_lo, exec_lo, s19
	v_dual_mov_b32 v5, v65 :: v_dual_lshlrev_b32 v74, 3, v118
	s_mov_b32 s8, exec_lo
	s_wait_loadcnt 0x1
	v_alignbit_b32 v4, v73, v2, v74
	v_mov_b32_e32 v2, 0
	s_delay_alu instid0(VALU_DEP_2) | instskip(NEXT) | instid1(VALU_DEP_1)
	v_and_b32_e32 v44, 0xff, v4
	v_cmpx_ne_u16_e32 0, v44
	s_cbranch_execz .LBB0_345
; %bb.340:                              ;   in Loop: Header=BB0_323 Depth=3
	v_bfrev_b32_e32 v2, 1
	s_mov_b32 s19, exec_lo
	v_cmpx_ne_u16_e32 0x80, v44
	s_cbranch_execz .LBB0_344
; %bb.341:                              ;   in Loop: Header=BB0_323 Depth=3
	v_and_b32_e32 v44, 0x7f, v4
	v_mov_b32_e32 v2, 0x7f800001
	s_mov_b32 s20, exec_lo
	s_delay_alu instid0(VALU_DEP_2)
	v_cmpx_ne_u32_e32 0x7f, v44
	s_cbranch_execz .LBB0_343
; %bb.342:                              ;   in Loop: Header=BB0_323 Depth=3
	v_cmp_gt_u32_e32 vcc_lo, 8, v44
	v_and_b32_e32 v2, 7, v4
	s_delay_alu instid0(VALU_DEP_1) | instskip(NEXT) | instid1(VALU_DEP_1)
	v_clz_i32_u32_e32 v2, v2
	v_min_u32_e32 v2, 32, v2
	v_lshrrev_b32_e32 v45, 3, v44
	s_delay_alu instid0(VALU_DEP_2) | instskip(SKIP_1) | instid1(VALU_DEP_2)
	v_subrev_nc_u32_e32 v46, 28, v2
	v_sub_nc_u32_e32 v2, 29, v2
	v_cndmask_b32_e32 v44, 0, v46, vcc_lo
	s_delay_alu instid0(VALU_DEP_2) | instskip(NEXT) | instid1(VALU_DEP_2)
	v_cndmask_b32_e32 v2, v45, v2, vcc_lo
	v_lshlrev_b64_e32 v[44:45], v44, v[4:5]
	v_lshlrev_b32_e32 v5, 24, v4
	s_delay_alu instid0(VALU_DEP_3) | instskip(NEXT) | instid1(VALU_DEP_2)
	v_lshl_add_u32 v2, v2, 23, 0x3c000000
	v_and_b32_e32 v5, 0x80000000, v5
	s_delay_alu instid0(VALU_DEP_4) | instskip(NEXT) | instid1(VALU_DEP_1)
	v_lshlrev_b32_e32 v44, 20, v44
	v_and_b32_e32 v44, 0x700000, v44
	s_delay_alu instid0(VALU_DEP_1)
	v_or3_b32 v2, v44, v5, v2
.LBB0_343:                              ;   in Loop: Header=BB0_323 Depth=3
	s_or_b32 exec_lo, exec_lo, s20
.LBB0_344:                              ;   in Loop: Header=BB0_323 Depth=3
	s_delay_alu instid0(SALU_CYCLE_1)
	s_or_b32 exec_lo, exec_lo, s19
.LBB0_345:                              ;   in Loop: Header=BB0_323 Depth=3
	s_delay_alu instid0(SALU_CYCLE_1) | instskip(NEXT) | instid1(VALU_DEP_1)
	s_or_b32 exec_lo, exec_lo, s8
	v_dual_mul_f32 v44, v30, v2 :: v_dual_mov_b32 v47, v65
                                        ; implicit-def: $vgpr2
	s_mov_b32 s8, exec_lo
	s_delay_alu instid0(VALU_DEP_1) | instskip(SKIP_1) | instid1(VALU_DEP_2)
	v_and_b32_e32 v46, 0x7f800000, v44
	v_lshrrev_b32_e32 v5, 24, v44
	v_cmpx_ne_u64_e32 0x7f800000, v[46:47]
	s_xor_b32 s19, exec_lo, s8
	s_cbranch_execz .LBB0_359
; %bb.346:                              ;   in Loop: Header=BB0_323 Depth=3
	v_and_b32_e32 v46, 0x7fffffff, v44
	v_mov_b32_e32 v47, v65
	v_and_b32_e32 v5, 0x80, v5
                                        ; implicit-def: $vgpr2
	s_mov_b32 s8, exec_lo
	s_delay_alu instid0(VALU_DEP_2)
	v_cmpx_gt_u64_e32 0x43e00001, v[46:47]
	s_xor_b32 s20, exec_lo, s8
	s_cbranch_execz .LBB0_356
; %bb.347:                              ;   in Loop: Header=BB0_323 Depth=3
	v_mov_b32_e32 v2, 0
	s_mov_b32 s21, exec_lo
	v_cmpx_ne_u32_e32 0, v44
	s_cbranch_execz .LBB0_355
; %bb.348:                              ;   in Loop: Header=BB0_323 Depth=3
	v_bfe_u32 v2, v44, 23, 8
	v_and_b32_e32 v46, 0x7fffff, v44
	s_mov_b32 s22, exec_lo
	s_delay_alu instid0(VALU_DEP_2) | instskip(SKIP_1) | instid1(VALU_DEP_3)
	v_sub_nc_u32_e32 v45, 0x79, v2
	v_cmp_gt_u32_e32 vcc_lo, 0x7a, v2
	v_or_b32_e32 v47, 0x800000, v46
	s_delay_alu instid0(VALU_DEP_3) | instskip(SKIP_1) | instid1(VALU_DEP_2)
	v_cndmask_b32_e32 v45, 0, v45, vcc_lo
	v_cmp_eq_u32_e32 vcc_lo, 0, v2
	v_cndmask_b32_e64 v72, v45, 0x78, vcc_lo
	s_delay_alu instid0(VALU_DEP_4) | instskip(NEXT) | instid1(VALU_DEP_2)
	v_dual_cndmask_b32 v46, v47, v46 :: v_dual_mov_b32 v47, v65
	v_dual_add_nc_u32 v44, 20, v72 :: v_dual_add_nc_u32 v75, 19, v72
	s_delay_alu instid0(VALU_DEP_1) | instskip(NEXT) | instid1(VALU_DEP_2)
	v_lshlrev_b64_e64 v[44:45], v44, -1
	v_lshlrev_b64_e64 v[76:77], v75, 1
	s_delay_alu instid0(VALU_DEP_2) | instskip(NEXT) | instid1(VALU_DEP_3)
	v_bfi_b32 v79, v45, 0, 0
	v_bfi_b32 v78, v44, 0, v46
	v_lshrrev_b64 v[44:45], v72, v[46:47]
	s_delay_alu instid0(VALU_DEP_1) | instskip(NEXT) | instid1(VALU_DEP_3)
	v_mov_b64_e32 v[46:47], v[44:45]
	v_cmpx_eq_u64_e64 v[78:79], v[76:77]
; %bb.349:                              ;   in Loop: Header=BB0_323 Depth=3
	v_bfe_u32 v46, v44, 20, 1
	v_mov_b32_e32 v47, v65
	s_delay_alu instid0(VALU_DEP_1) | instskip(NEXT) | instid1(VALU_DEP_1)
	v_add_nc_u64_e32 v[46:47], v[44:45], v[46:47]
	v_add_nc_u64_e32 v[46:47], -1, v[46:47]
; %bb.350:                              ;   in Loop: Header=BB0_323 Depth=3
	s_or_b32 exec_lo, exec_lo, s22
	v_add_nc_u32_e32 v2, 0xffffff81, v2
	v_lshrrev_b32_e32 v45, 23, v44
	s_mov_b32 s8, exec_lo
	s_delay_alu instid0(VALU_DEP_2) | instskip(NEXT) | instid1(VALU_DEP_1)
	v_cndmask_b32_e64 v2, v2, 0xffffff82, vcc_lo
	v_add3_u32 v47, v72, v2, v45
	v_and_b32_e32 v2, 0xfffff, v46
	s_delay_alu instid0(VALU_DEP_2) | instskip(NEXT) | instid1(VALU_DEP_2)
	v_dual_mov_b32 v45, v65 :: v_dual_add_nc_u32 v46, 6, v47
	v_add_nc_u32_e32 v44, v2, v44
                                        ; implicit-def: $vgpr2
	s_delay_alu instid0(VALU_DEP_2)
	v_cmpx_ne_u32_e32 0, v46
	s_xor_b32 s8, exec_lo, s8
; %bb.351:                              ;   in Loop: Header=BB0_323 Depth=3
	s_delay_alu instid0(VALU_DEP_2) | instskip(SKIP_1) | instid1(VALU_DEP_1)
	v_cmp_lt_u64_e32 vcc_lo, 0xffffff, v[44:45]
	v_add_nc_u32_e32 v2, 7, v47
	v_cndmask_b32_e32 v2, v46, v2, vcc_lo
	v_cndmask_b32_e64 v46, 0, 1, vcc_lo
	s_delay_alu instid0(VALU_DEP_1)
	v_lshrrev_b64 v[44:45], v46, v[44:45]
; %bb.352:                              ;   in Loop: Header=BB0_323 Depth=3
	s_and_not1_saveexec_b32 s8, s8
; %bb.353:                              ;   in Loop: Header=BB0_323 Depth=3
	s_delay_alu instid0(VALU_DEP_1)
	v_bfe_u32 v2, v44, 23, 1
; %bb.354:                              ;   in Loop: Header=BB0_323 Depth=3
	s_or_b32 exec_lo, exec_lo, s8
	s_delay_alu instid0(VALU_DEP_2) | instskip(NEXT) | instid1(VALU_DEP_2)
	v_lshrrev_b64 v[44:45], 20, v[44:45]
	v_cmp_gt_i32_e32 vcc_lo, 16, v2
	v_min_i32_e32 v46, 15, v2
	v_cmp_eq_u32_e64 s8, 0, v2
	s_delay_alu instid0(VALU_DEP_2) | instskip(SKIP_1) | instid1(VALU_DEP_2)
	v_dual_cndmask_b32 v45, 0, v45 :: v_dual_lshlrev_b32 v46, 3, v46
	v_cndmask_b32_e32 v44, 7, v44, vcc_lo
	v_and_b32_e32 v46, 0xf8, v46
	s_delay_alu instid0(VALU_DEP_2) | instskip(NEXT) | instid1(VALU_DEP_2)
	v_cmp_eq_u64_e32 vcc_lo, 0, v[44:45]
	v_and_or_b32 v2, v44, 7, v46
	s_and_b32 s8, s8, vcc_lo
	s_delay_alu instid0(VALU_DEP_1) | instid1(SALU_CYCLE_1)
	v_cndmask_b32_e64 v2, v2, 0, s8
	s_delay_alu instid0(VALU_DEP_1)
	v_or_b32_e32 v2, v2, v5
.LBB0_355:                              ;   in Loop: Header=BB0_323 Depth=3
	s_or_b32 exec_lo, exec_lo, s21
                                        ; implicit-def: $vgpr5
.LBB0_356:                              ;   in Loop: Header=BB0_323 Depth=3
	s_and_not1_saveexec_b32 s8, s20
; %bb.357:                              ;   in Loop: Header=BB0_323 Depth=3
	v_or_b32_e32 v2, 0x7e, v5
; %bb.358:                              ;   in Loop: Header=BB0_323 Depth=3
	s_or_b32 exec_lo, exec_lo, s8
                                        ; implicit-def: $vgpr5
.LBB0_359:                              ;   in Loop: Header=BB0_323 Depth=3
	s_and_not1_saveexec_b32 s8, s19
; %bb.360:                              ;   in Loop: Header=BB0_323 Depth=3
	v_or_b32_e32 v2, 0x7f, v5
; %bb.361:                              ;   in Loop: Header=BB0_323 Depth=3
	s_or_b32 exec_lo, exec_lo, s8
	v_lshrrev_b16 v44, 8, v4
	v_mov_b32_e32 v5, 0
	s_mov_b32 s8, exec_lo
	s_delay_alu instid0(VALU_DEP_2)
	v_cmpx_ne_u16_e32 0, v44
	s_cbranch_execz .LBB0_369
; %bb.362:                              ;   in Loop: Header=BB0_323 Depth=3
	v_bfrev_b32_e32 v5, 1
	s_mov_b32 s19, exec_lo
	v_cmpx_ne_u16_e32 0x80, v44
	s_cbranch_execz .LBB0_368
; %bb.363:                              ;   in Loop: Header=BB0_323 Depth=3
	v_and_b32_e32 v44, 0xffff, v44
	v_mov_b32_e32 v5, 0x7f800001
	s_mov_b32 s20, exec_lo
	s_delay_alu instid0(VALU_DEP_2) | instskip(NEXT) | instid1(VALU_DEP_1)
	v_and_b32_e32 v46, 0x7f, v44
	v_cmpx_ne_u32_e32 0x7f, v46
	s_cbranch_execz .LBB0_367
; %bb.364:                              ;   in Loop: Header=BB0_323 Depth=3
	v_dual_mov_b32 v45, v65 :: v_dual_bitop2_b32 v44, 7, v44 bitop3:0x40
	v_lshrrev_b32_e32 v5, 3, v46
	s_mov_b32 s21, exec_lo
	v_cmpx_gt_u32_e32 8, v46
; %bb.365:                              ;   in Loop: Header=BB0_323 Depth=3
	s_delay_alu instid0(VALU_DEP_3) | instskip(NEXT) | instid1(VALU_DEP_1)
	v_clz_i32_u32_e32 v5, v44
	v_min_u32_e32 v5, 32, v5
	s_delay_alu instid0(VALU_DEP_1) | instskip(NEXT) | instid1(VALU_DEP_1)
	v_subrev_nc_u32_e32 v46, 28, v5
	v_lshlrev_b64_e32 v[44:45], v46, v[44:45]
	s_delay_alu instid0(VALU_DEP_1)
	v_dual_sub_nc_u32 v5, 29, v5 :: v_dual_bitop2_b32 v44, 7, v44 bitop3:0x40
; %bb.366:                              ;   in Loop: Header=BB0_323 Depth=3
	s_or_b32 exec_lo, exec_lo, s21
	v_lshlrev_b32_e32 v45, 16, v4
	s_delay_alu instid0(VALU_DEP_2) | instskip(NEXT) | instid1(VALU_DEP_3)
	v_lshlrev_b32_e32 v44, 20, v44
	v_lshl_add_u32 v5, v5, 23, 0x3c000000
	s_delay_alu instid0(VALU_DEP_3) | instskip(NEXT) | instid1(VALU_DEP_1)
	v_and_b32_e32 v45, 0x80000000, v45
	v_or3_b32 v5, v44, v45, v5
.LBB0_367:                              ;   in Loop: Header=BB0_323 Depth=3
	s_or_b32 exec_lo, exec_lo, s20
.LBB0_368:                              ;   in Loop: Header=BB0_323 Depth=3
	s_delay_alu instid0(SALU_CYCLE_1)
	s_or_b32 exec_lo, exec_lo, s19
.LBB0_369:                              ;   in Loop: Header=BB0_323 Depth=3
	s_delay_alu instid0(SALU_CYCLE_1) | instskip(NEXT) | instid1(VALU_DEP_1)
	s_or_b32 exec_lo, exec_lo, s8
	v_dual_mul_f32 v44, v30, v5 :: v_dual_mov_b32 v47, v65
                                        ; implicit-def: $vgpr72
	s_mov_b32 s8, exec_lo
	s_delay_alu instid0(VALU_DEP_1) | instskip(SKIP_1) | instid1(VALU_DEP_2)
	v_and_b32_e32 v46, 0x7f800000, v44
	v_lshrrev_b32_e32 v5, 24, v44
	v_cmpx_ne_u64_e32 0x7f800000, v[46:47]
	s_xor_b32 s19, exec_lo, s8
	s_cbranch_execz .LBB0_383
; %bb.370:                              ;   in Loop: Header=BB0_323 Depth=3
	v_and_b32_e32 v46, 0x7fffffff, v44
	v_mov_b32_e32 v47, v65
	v_and_b32_e32 v5, 0x80, v5
                                        ; implicit-def: $vgpr72
	s_mov_b32 s8, exec_lo
	s_delay_alu instid0(VALU_DEP_2)
	v_cmpx_gt_u64_e32 0x43e00001, v[46:47]
	s_xor_b32 s20, exec_lo, s8
	s_cbranch_execz .LBB0_380
; %bb.371:                              ;   in Loop: Header=BB0_323 Depth=3
	v_mov_b32_e32 v72, 0
	s_mov_b32 s21, exec_lo
	v_cmpx_ne_u32_e32 0, v44
	s_cbranch_execz .LBB0_379
; %bb.372:                              ;   in Loop: Header=BB0_323 Depth=3
	v_bfe_u32 v72, v44, 23, 8
	v_and_b32_e32 v46, 0x7fffff, v44
	s_mov_b32 s22, exec_lo
	s_delay_alu instid0(VALU_DEP_2) | instskip(NEXT) | instid1(VALU_DEP_2)
	v_cmp_gt_u32_e32 vcc_lo, 0x7a, v72
	v_or_b32_e32 v47, 0x800000, v46
	v_sub_nc_u32_e32 v45, 0x79, v72
	s_delay_alu instid0(VALU_DEP_1) | instskip(SKIP_1) | instid1(VALU_DEP_2)
	v_cndmask_b32_e32 v45, 0, v45, vcc_lo
	v_cmp_eq_u32_e32 vcc_lo, 0, v72
	v_cndmask_b32_e64 v75, v45, 0x78, vcc_lo
	v_dual_cndmask_b32 v46, v47, v46 :: v_dual_mov_b32 v47, v65
	s_delay_alu instid0(VALU_DEP_2) | instskip(NEXT) | instid1(VALU_DEP_1)
	v_dual_add_nc_u32 v76, 19, v75 :: v_dual_add_nc_u32 v44, 20, v75
	v_lshlrev_b64_e64 v[76:77], v76, 1
	s_delay_alu instid0(VALU_DEP_2) | instskip(NEXT) | instid1(VALU_DEP_1)
	v_lshlrev_b64_e64 v[44:45], v44, -1
	v_bfi_b32 v79, v45, 0, 0
	s_delay_alu instid0(VALU_DEP_2) | instskip(SKIP_1) | instid1(VALU_DEP_1)
	v_bfi_b32 v78, v44, 0, v46
	v_lshrrev_b64 v[44:45], v75, v[46:47]
	v_mov_b64_e32 v[46:47], v[44:45]
	s_delay_alu instid0(VALU_DEP_3)
	v_cmpx_eq_u64_e64 v[78:79], v[76:77]
; %bb.373:                              ;   in Loop: Header=BB0_323 Depth=3
	v_bfe_u32 v46, v44, 20, 1
	v_mov_b32_e32 v47, v65
	s_delay_alu instid0(VALU_DEP_1) | instskip(NEXT) | instid1(VALU_DEP_1)
	v_add_nc_u64_e32 v[46:47], v[44:45], v[46:47]
	v_add_nc_u64_e32 v[46:47], -1, v[46:47]
; %bb.374:                              ;   in Loop: Header=BB0_323 Depth=3
	s_or_b32 exec_lo, exec_lo, s22
	v_add_nc_u32_e32 v45, 0xffffff81, v72
	v_lshrrev_b32_e32 v47, 23, v44
	s_mov_b32 s8, exec_lo
	s_delay_alu instid0(VALU_DEP_2) | instskip(NEXT) | instid1(VALU_DEP_1)
	v_cndmask_b32_e64 v45, v45, 0xffffff82, vcc_lo
	v_add3_u32 v47, v75, v45, v47
	v_and_b32_e32 v45, 0xfffff, v46
                                        ; implicit-def: $vgpr46
	s_delay_alu instid0(VALU_DEP_1) | instskip(SKIP_1) | instid1(VALU_DEP_2)
	v_dual_add_nc_u32 v72, 6, v47 :: v_dual_add_nc_u32 v44, v45, v44
	v_mov_b32_e32 v45, v65
	v_cmpx_ne_u32_e32 0, v72
	s_xor_b32 s8, exec_lo, s8
; %bb.375:                              ;   in Loop: Header=BB0_323 Depth=3
	s_delay_alu instid0(VALU_DEP_2) | instskip(SKIP_2) | instid1(VALU_DEP_2)
	v_cmp_lt_u64_e32 vcc_lo, 0xffffff, v[44:45]
	v_add_nc_u32_e32 v46, 7, v47
	v_cndmask_b32_e64 v47, 0, 1, vcc_lo
	v_cndmask_b32_e32 v46, v72, v46, vcc_lo
	s_delay_alu instid0(VALU_DEP_2)
	v_lshrrev_b64 v[44:45], v47, v[44:45]
; %bb.376:                              ;   in Loop: Header=BB0_323 Depth=3
	s_and_not1_saveexec_b32 s8, s8
; %bb.377:                              ;   in Loop: Header=BB0_323 Depth=3
	s_delay_alu instid0(VALU_DEP_1)
	v_bfe_u32 v46, v44, 23, 1
; %bb.378:                              ;   in Loop: Header=BB0_323 Depth=3
	s_or_b32 exec_lo, exec_lo, s8
	s_delay_alu instid0(VALU_DEP_2) | instskip(NEXT) | instid1(VALU_DEP_2)
	v_lshrrev_b64 v[44:45], 20, v[44:45]
	v_cmp_gt_i32_e32 vcc_lo, 16, v46
	v_min_i32_e32 v47, 15, v46
	v_cmp_eq_u32_e64 s8, 0, v46
	s_delay_alu instid0(VALU_DEP_2) | instskip(SKIP_1) | instid1(VALU_DEP_2)
	v_dual_cndmask_b32 v45, 0, v45, vcc_lo :: v_dual_lshlrev_b32 v47, 3, v47
	v_cndmask_b32_e32 v44, 7, v44, vcc_lo
	v_and_b32_e32 v47, 0xf8, v47
	s_delay_alu instid0(VALU_DEP_2) | instskip(NEXT) | instid1(VALU_DEP_2)
	v_cmp_eq_u64_e32 vcc_lo, 0, v[44:45]
	v_and_or_b32 v44, v44, 7, v47
	s_and_b32 s8, s8, vcc_lo
	s_delay_alu instid0(VALU_DEP_1) | instid1(SALU_CYCLE_1)
	v_cndmask_b32_e64 v44, v44, 0, s8
	s_delay_alu instid0(VALU_DEP_1)
	v_or_b32_e32 v72, v44, v5
.LBB0_379:                              ;   in Loop: Header=BB0_323 Depth=3
	s_or_b32 exec_lo, exec_lo, s21
                                        ; implicit-def: $vgpr5
.LBB0_380:                              ;   in Loop: Header=BB0_323 Depth=3
	s_and_not1_saveexec_b32 s8, s20
; %bb.381:                              ;   in Loop: Header=BB0_323 Depth=3
	v_or_b32_e32 v72, 0x7e, v5
; %bb.382:                              ;   in Loop: Header=BB0_323 Depth=3
	s_or_b32 exec_lo, exec_lo, s8
                                        ; implicit-def: $vgpr5
.LBB0_383:                              ;   in Loop: Header=BB0_323 Depth=3
	s_and_not1_saveexec_b32 s8, s19
; %bb.384:                              ;   in Loop: Header=BB0_323 Depth=3
	v_or_b32_e32 v72, 0x7f, v5
; %bb.385:                              ;   in Loop: Header=BB0_323 Depth=3
	s_or_b32 exec_lo, exec_lo, s8
	v_dual_mov_b32 v44, 0 :: v_dual_lshrrev_b32 v5, 16, v4
	s_mov_b32 s8, exec_lo
	s_delay_alu instid0(VALU_DEP_1) | instskip(NEXT) | instid1(VALU_DEP_1)
	v_and_b32_e32 v45, 0xff, v5
	v_cmpx_ne_u16_e32 0, v45
	s_cbranch_execz .LBB0_393
; %bb.386:                              ;   in Loop: Header=BB0_323 Depth=3
	v_bfrev_b32_e32 v44, 1
	s_mov_b32 s19, exec_lo
	v_cmpx_ne_u16_e32 0x80, v45
	s_cbranch_execz .LBB0_392
; %bb.387:                              ;   in Loop: Header=BB0_323 Depth=3
	v_bfe_u32 v47, v4, 16, 7
	v_mov_b32_e32 v44, 0x7f800001
	s_mov_b32 s20, exec_lo
	s_delay_alu instid0(VALU_DEP_2)
	v_cmpx_ne_u32_e32 0x7f, v47
	s_cbranch_execz .LBB0_391
; %bb.388:                              ;   in Loop: Header=BB0_323 Depth=3
	v_dual_mov_b32 v45, v65 :: v_dual_bitop2_b32 v44, 7, v5 bitop3:0x40
	v_lshrrev_b32_e32 v46, 3, v47
	s_mov_b32 s21, exec_lo
	v_cmpx_gt_u32_e32 8, v47
; %bb.389:                              ;   in Loop: Header=BB0_323 Depth=3
	s_delay_alu instid0(VALU_DEP_3) | instskip(NEXT) | instid1(VALU_DEP_1)
	v_clz_i32_u32_e32 v46, v44
	v_min_u32_e32 v46, 32, v46
	s_delay_alu instid0(VALU_DEP_1) | instskip(NEXT) | instid1(VALU_DEP_1)
	v_subrev_nc_u32_e32 v47, 28, v46
	v_lshlrev_b64_e32 v[44:45], v47, v[44:45]
	s_delay_alu instid0(VALU_DEP_1)
	v_dual_sub_nc_u32 v46, 29, v46 :: v_dual_bitop2_b32 v44, 7, v44 bitop3:0x40
; %bb.390:                              ;   in Loop: Header=BB0_323 Depth=3
	s_or_b32 exec_lo, exec_lo, s21
	s_delay_alu instid0(VALU_DEP_1) | instskip(NEXT) | instid1(VALU_DEP_2)
	v_dual_lshlrev_b32 v5, 24, v5 :: v_dual_lshlrev_b32 v44, 20, v44
	v_lshl_add_u32 v45, v46, 23, 0x3c000000
	s_delay_alu instid0(VALU_DEP_2) | instskip(NEXT) | instid1(VALU_DEP_1)
	v_and_b32_e32 v5, 0x80000000, v5
	v_or3_b32 v44, v44, v5, v45
.LBB0_391:                              ;   in Loop: Header=BB0_323 Depth=3
	s_or_b32 exec_lo, exec_lo, s20
.LBB0_392:                              ;   in Loop: Header=BB0_323 Depth=3
	s_delay_alu instid0(SALU_CYCLE_1)
	s_or_b32 exec_lo, exec_lo, s19
.LBB0_393:                              ;   in Loop: Header=BB0_323 Depth=3
	s_delay_alu instid0(SALU_CYCLE_1) | instskip(NEXT) | instid1(VALU_DEP_1)
	s_or_b32 exec_lo, exec_lo, s8
	v_dual_mul_f32 v44, v30, v44 :: v_dual_mov_b32 v47, v65
                                        ; implicit-def: $vgpr76
	s_mov_b32 s8, exec_lo
	s_delay_alu instid0(VALU_DEP_1) | instskip(SKIP_1) | instid1(VALU_DEP_2)
	v_and_b32_e32 v46, 0x7f800000, v44
	v_lshrrev_b32_e32 v5, 24, v44
	v_cmpx_ne_u64_e32 0x7f800000, v[46:47]
	s_xor_b32 s19, exec_lo, s8
	s_cbranch_execz .LBB0_407
; %bb.394:                              ;   in Loop: Header=BB0_323 Depth=3
	v_and_b32_e32 v46, 0x7fffffff, v44
	v_mov_b32_e32 v47, v65
	v_and_b32_e32 v5, 0x80, v5
                                        ; implicit-def: $vgpr76
	s_mov_b32 s8, exec_lo
	s_delay_alu instid0(VALU_DEP_2)
	v_cmpx_gt_u64_e32 0x43e00001, v[46:47]
	s_xor_b32 s20, exec_lo, s8
	s_cbranch_execz .LBB0_404
; %bb.395:                              ;   in Loop: Header=BB0_323 Depth=3
	v_mov_b32_e32 v76, 0
	s_mov_b32 s21, exec_lo
	v_cmpx_ne_u32_e32 0, v44
	s_cbranch_execz .LBB0_403
; %bb.396:                              ;   in Loop: Header=BB0_323 Depth=3
	v_bfe_u32 v75, v44, 23, 8
	v_and_b32_e32 v46, 0x7fffff, v44
	s_mov_b32 s22, exec_lo
	s_delay_alu instid0(VALU_DEP_2) | instskip(NEXT) | instid1(VALU_DEP_2)
	v_cmp_gt_u32_e32 vcc_lo, 0x7a, v75
	v_or_b32_e32 v47, 0x800000, v46
	v_sub_nc_u32_e32 v45, 0x79, v75
	s_delay_alu instid0(VALU_DEP_1) | instskip(SKIP_1) | instid1(VALU_DEP_2)
	v_cndmask_b32_e32 v45, 0, v45, vcc_lo
	v_cmp_eq_u32_e32 vcc_lo, 0, v75
	v_cndmask_b32_e64 v76, v45, 0x78, vcc_lo
	v_dual_cndmask_b32 v46, v47, v46 :: v_dual_mov_b32 v47, v65
	s_delay_alu instid0(VALU_DEP_2) | instskip(NEXT) | instid1(VALU_DEP_1)
	v_dual_add_nc_u32 v77, 19, v76 :: v_dual_add_nc_u32 v44, 20, v76
	v_lshlrev_b64_e64 v[78:79], v77, 1
	s_delay_alu instid0(VALU_DEP_2) | instskip(NEXT) | instid1(VALU_DEP_1)
	v_lshlrev_b64_e64 v[44:45], v44, -1
	v_bfi_b32 v89, v45, 0, 0
	s_delay_alu instid0(VALU_DEP_2) | instskip(SKIP_1) | instid1(VALU_DEP_1)
	v_bfi_b32 v88, v44, 0, v46
	v_lshrrev_b64 v[44:45], v76, v[46:47]
	v_mov_b64_e32 v[46:47], v[44:45]
	s_delay_alu instid0(VALU_DEP_3)
	v_cmpx_eq_u64_e64 v[88:89], v[78:79]
; %bb.397:                              ;   in Loop: Header=BB0_323 Depth=3
	v_bfe_u32 v46, v44, 20, 1
	v_mov_b32_e32 v47, v65
	s_delay_alu instid0(VALU_DEP_1) | instskip(NEXT) | instid1(VALU_DEP_1)
	v_add_nc_u64_e32 v[46:47], v[44:45], v[46:47]
	v_add_nc_u64_e32 v[46:47], -1, v[46:47]
; %bb.398:                              ;   in Loop: Header=BB0_323 Depth=3
	s_or_b32 exec_lo, exec_lo, s22
	v_add_nc_u32_e32 v45, 0xffffff81, v75
	v_lshrrev_b32_e32 v47, 23, v44
	s_mov_b32 s8, exec_lo
	s_delay_alu instid0(VALU_DEP_2) | instskip(NEXT) | instid1(VALU_DEP_1)
	v_cndmask_b32_e64 v45, v45, 0xffffff82, vcc_lo
	v_add3_u32 v47, v76, v45, v47
	v_and_b32_e32 v45, 0xfffff, v46
                                        ; implicit-def: $vgpr46
	s_delay_alu instid0(VALU_DEP_1) | instskip(SKIP_1) | instid1(VALU_DEP_2)
	v_dual_add_nc_u32 v75, 6, v47 :: v_dual_add_nc_u32 v44, v45, v44
	v_mov_b32_e32 v45, v65
	v_cmpx_ne_u32_e32 0, v75
	s_xor_b32 s8, exec_lo, s8
; %bb.399:                              ;   in Loop: Header=BB0_323 Depth=3
	s_delay_alu instid0(VALU_DEP_2) | instskip(SKIP_2) | instid1(VALU_DEP_2)
	v_cmp_lt_u64_e32 vcc_lo, 0xffffff, v[44:45]
	v_add_nc_u32_e32 v46, 7, v47
	v_cndmask_b32_e64 v47, 0, 1, vcc_lo
	v_cndmask_b32_e32 v46, v75, v46, vcc_lo
	s_delay_alu instid0(VALU_DEP_2)
	v_lshrrev_b64 v[44:45], v47, v[44:45]
; %bb.400:                              ;   in Loop: Header=BB0_323 Depth=3
	s_and_not1_saveexec_b32 s8, s8
; %bb.401:                              ;   in Loop: Header=BB0_323 Depth=3
	s_delay_alu instid0(VALU_DEP_1)
	v_bfe_u32 v46, v44, 23, 1
; %bb.402:                              ;   in Loop: Header=BB0_323 Depth=3
	s_or_b32 exec_lo, exec_lo, s8
	s_delay_alu instid0(VALU_DEP_2) | instskip(NEXT) | instid1(VALU_DEP_2)
	v_lshrrev_b64 v[44:45], 20, v[44:45]
	v_cmp_gt_i32_e32 vcc_lo, 16, v46
	v_min_i32_e32 v47, 15, v46
	v_cmp_eq_u32_e64 s8, 0, v46
	s_delay_alu instid0(VALU_DEP_2) | instskip(SKIP_1) | instid1(VALU_DEP_2)
	v_dual_cndmask_b32 v45, 0, v45, vcc_lo :: v_dual_lshlrev_b32 v47, 3, v47
	v_cndmask_b32_e32 v44, 7, v44, vcc_lo
	v_and_b32_e32 v47, 0xf8, v47
	s_delay_alu instid0(VALU_DEP_2) | instskip(NEXT) | instid1(VALU_DEP_2)
	v_cmp_eq_u64_e32 vcc_lo, 0, v[44:45]
	v_and_or_b32 v44, v44, 7, v47
	s_and_b32 s8, s8, vcc_lo
	s_delay_alu instid0(VALU_DEP_1) | instid1(SALU_CYCLE_1)
	v_cndmask_b32_e64 v44, v44, 0, s8
	s_delay_alu instid0(VALU_DEP_1)
	v_or_b32_e32 v76, v44, v5
.LBB0_403:                              ;   in Loop: Header=BB0_323 Depth=3
	s_or_b32 exec_lo, exec_lo, s21
                                        ; implicit-def: $vgpr5
.LBB0_404:                              ;   in Loop: Header=BB0_323 Depth=3
	s_and_not1_saveexec_b32 s8, s20
; %bb.405:                              ;   in Loop: Header=BB0_323 Depth=3
	v_or_b32_e32 v76, 0x7e, v5
; %bb.406:                              ;   in Loop: Header=BB0_323 Depth=3
	s_or_b32 exec_lo, exec_lo, s8
                                        ; implicit-def: $vgpr5
.LBB0_407:                              ;   in Loop: Header=BB0_323 Depth=3
	s_and_not1_saveexec_b32 s8, s19
; %bb.408:                              ;   in Loop: Header=BB0_323 Depth=3
	v_or_b32_e32 v76, 0x7f, v5
; %bb.409:                              ;   in Loop: Header=BB0_323 Depth=3
	s_or_b32 exec_lo, exec_lo, s8
	v_mov_b32_e32 v5, 0
	s_mov_b32 s8, exec_lo
	v_cmpx_lt_u32_e32 0xffffff, v4
	s_cbranch_execz .LBB0_417
; %bb.410:                              ;   in Loop: Header=BB0_323 Depth=3
	v_lshrrev_b32_e32 v44, 24, v4
	v_bfrev_b32_e32 v5, 1
	s_mov_b32 s19, exec_lo
	s_delay_alu instid0(VALU_DEP_2)
	v_cmpx_ne_u32_e32 0x80, v44
	s_cbranch_execz .LBB0_416
; %bb.411:                              ;   in Loop: Header=BB0_323 Depth=3
	v_bfe_u32 v46, v4, 24, 7
	v_mov_b32_e32 v5, 0x7f800001
	s_mov_b32 s20, exec_lo
	s_delay_alu instid0(VALU_DEP_2)
	v_cmpx_ne_u32_e32 0x7f, v46
	s_cbranch_execz .LBB0_415
; %bb.412:                              ;   in Loop: Header=BB0_323 Depth=3
	v_dual_mov_b32 v5, v65 :: v_dual_bitop2_b32 v4, 7, v44 bitop3:0x40
	v_lshrrev_b32_e32 v45, 3, v46
	s_mov_b32 s21, exec_lo
	v_cmpx_gt_u32_e32 8, v46
; %bb.413:                              ;   in Loop: Header=BB0_323 Depth=3
	s_delay_alu instid0(VALU_DEP_3) | instskip(NEXT) | instid1(VALU_DEP_1)
	v_clz_i32_u32_e32 v45, v4
	v_min_u32_e32 v45, 32, v45
	s_delay_alu instid0(VALU_DEP_1) | instskip(NEXT) | instid1(VALU_DEP_1)
	v_subrev_nc_u32_e32 v46, 28, v45
	v_lshlrev_b64_e32 v[4:5], v46, v[4:5]
	s_delay_alu instid0(VALU_DEP_1)
	v_dual_sub_nc_u32 v45, 29, v45 :: v_dual_bitop2_b32 v4, 7, v4 bitop3:0x40
; %bb.414:                              ;   in Loop: Header=BB0_323 Depth=3
	s_or_b32 exec_lo, exec_lo, s21
	v_lshlrev_b32_e32 v5, 24, v44
	s_delay_alu instid0(VALU_DEP_2) | instskip(NEXT) | instid1(VALU_DEP_3)
	v_lshlrev_b32_e32 v4, 20, v4
	v_lshl_add_u32 v44, v45, 23, 0x3c000000
	s_delay_alu instid0(VALU_DEP_3) | instskip(NEXT) | instid1(VALU_DEP_1)
	v_and_b32_e32 v5, 0x80000000, v5
	v_or3_b32 v5, v4, v5, v44
.LBB0_415:                              ;   in Loop: Header=BB0_323 Depth=3
	s_or_b32 exec_lo, exec_lo, s20
.LBB0_416:                              ;   in Loop: Header=BB0_323 Depth=3
	s_delay_alu instid0(SALU_CYCLE_1)
	s_or_b32 exec_lo, exec_lo, s19
.LBB0_417:                              ;   in Loop: Header=BB0_323 Depth=3
	s_delay_alu instid0(SALU_CYCLE_1) | instskip(NEXT) | instid1(VALU_DEP_1)
	s_or_b32 exec_lo, exec_lo, s8
	v_dual_mul_f32 v4, v30, v5 :: v_dual_mov_b32 v45, v65
                                        ; implicit-def: $vgpr77
	s_mov_b32 s8, exec_lo
	s_delay_alu instid0(VALU_DEP_1) | instskip(SKIP_1) | instid1(VALU_DEP_2)
	v_and_b32_e32 v44, 0x7f800000, v4
	v_lshrrev_b32_e32 v5, 24, v4
	v_cmpx_ne_u64_e32 0x7f800000, v[44:45]
	s_xor_b32 s19, exec_lo, s8
	s_cbranch_execz .LBB0_431
; %bb.418:                              ;   in Loop: Header=BB0_323 Depth=3
	v_and_b32_e32 v44, 0x7fffffff, v4
	v_mov_b32_e32 v45, v65
	v_and_b32_e32 v46, 0x80, v5
                                        ; implicit-def: $vgpr77
	s_mov_b32 s8, exec_lo
	s_delay_alu instid0(VALU_DEP_2)
	v_cmpx_gt_u64_e32 0x43e00001, v[44:45]
	s_xor_b32 s20, exec_lo, s8
	s_cbranch_execz .LBB0_428
; %bb.419:                              ;   in Loop: Header=BB0_323 Depth=3
	v_mov_b32_e32 v77, 0
	s_mov_b32 s21, exec_lo
	v_cmpx_ne_u32_e32 0, v4
	s_cbranch_execz .LBB0_427
; %bb.420:                              ;   in Loop: Header=BB0_323 Depth=3
	v_bfe_u32 v47, v4, 23, 8
	v_and_b32_e32 v44, 0x7fffff, v4
	s_mov_b32 s22, exec_lo
	s_delay_alu instid0(VALU_DEP_2) | instskip(NEXT) | instid1(VALU_DEP_2)
	v_cmp_gt_u32_e32 vcc_lo, 0x7a, v47
	v_or_b32_e32 v45, 0x800000, v44
	v_sub_nc_u32_e32 v5, 0x79, v47
	s_delay_alu instid0(VALU_DEP_1) | instskip(SKIP_1) | instid1(VALU_DEP_2)
	v_cndmask_b32_e32 v5, 0, v5, vcc_lo
	v_cmp_eq_u32_e32 vcc_lo, 0, v47
	v_cndmask_b32_e64 v75, v5, 0x78, vcc_lo
	v_cndmask_b32_e32 v44, v45, v44, vcc_lo
	s_delay_alu instid0(VALU_DEP_2) | instskip(SKIP_1) | instid1(VALU_DEP_2)
	v_dual_mov_b32 v45, v65 :: v_dual_add_nc_u32 v77, 19, v75
	v_add_nc_u32_e32 v4, 20, v75
	v_lshlrev_b64_e64 v[78:79], v77, 1
	s_delay_alu instid0(VALU_DEP_2) | instskip(NEXT) | instid1(VALU_DEP_1)
	v_lshlrev_b64_e64 v[4:5], v4, -1
	v_bfi_b32 v89, v5, 0, 0
	s_delay_alu instid0(VALU_DEP_2) | instskip(SKIP_1) | instid1(VALU_DEP_1)
	v_bfi_b32 v88, v4, 0, v44
	v_lshrrev_b64 v[4:5], v75, v[44:45]
	v_mov_b64_e32 v[44:45], v[4:5]
	s_delay_alu instid0(VALU_DEP_3)
	v_cmpx_eq_u64_e64 v[88:89], v[78:79]
; %bb.421:                              ;   in Loop: Header=BB0_323 Depth=3
	v_bfe_u32 v44, v4, 20, 1
	v_mov_b32_e32 v45, v65
	s_delay_alu instid0(VALU_DEP_1) | instskip(NEXT) | instid1(VALU_DEP_1)
	v_add_nc_u64_e32 v[44:45], v[4:5], v[44:45]
	v_add_nc_u64_e32 v[44:45], -1, v[44:45]
; %bb.422:                              ;   in Loop: Header=BB0_323 Depth=3
	s_or_b32 exec_lo, exec_lo, s22
	v_add_nc_u32_e32 v5, 0xffffff81, v47
	v_lshrrev_b32_e32 v45, 23, v4
	s_mov_b32 s8, exec_lo
	s_delay_alu instid0(VALU_DEP_2) | instskip(NEXT) | instid1(VALU_DEP_1)
	v_cndmask_b32_e64 v5, v5, 0xffffff82, vcc_lo
	v_add3_u32 v45, v75, v5, v45
	v_and_b32_e32 v5, 0xfffff, v44
                                        ; implicit-def: $vgpr44
	s_delay_alu instid0(VALU_DEP_1) | instskip(SKIP_1) | instid1(VALU_DEP_2)
	v_dual_add_nc_u32 v47, 6, v45 :: v_dual_add_nc_u32 v4, v5, v4
	v_mov_b32_e32 v5, v65
	v_cmpx_ne_u32_e32 0, v47
	s_xor_b32 s8, exec_lo, s8
; %bb.423:                              ;   in Loop: Header=BB0_323 Depth=3
	s_delay_alu instid0(VALU_DEP_2) | instskip(SKIP_2) | instid1(VALU_DEP_2)
	v_cmp_lt_u64_e32 vcc_lo, 0xffffff, v[4:5]
	v_add_nc_u32_e32 v44, 7, v45
	v_cndmask_b32_e64 v45, 0, 1, vcc_lo
	v_cndmask_b32_e32 v44, v47, v44, vcc_lo
	s_delay_alu instid0(VALU_DEP_2)
	v_lshrrev_b64 v[4:5], v45, v[4:5]
; %bb.424:                              ;   in Loop: Header=BB0_323 Depth=3
	s_and_not1_saveexec_b32 s8, s8
; %bb.425:                              ;   in Loop: Header=BB0_323 Depth=3
	s_delay_alu instid0(VALU_DEP_1)
	v_bfe_u32 v44, v4, 23, 1
; %bb.426:                              ;   in Loop: Header=BB0_323 Depth=3
	s_or_b32 exec_lo, exec_lo, s8
	s_delay_alu instid0(VALU_DEP_2) | instskip(NEXT) | instid1(VALU_DEP_2)
	v_lshrrev_b64 v[4:5], 20, v[4:5]
	v_cmp_gt_i32_e32 vcc_lo, 16, v44
	v_min_i32_e32 v45, 15, v44
	v_cmp_eq_u32_e64 s8, 0, v44
	s_delay_alu instid0(VALU_DEP_4) | instskip(NEXT) | instid1(VALU_DEP_3)
	v_cndmask_b32_e32 v5, 0, v5, vcc_lo
	v_dual_cndmask_b32 v4, 7, v4 :: v_dual_lshlrev_b32 v45, 3, v45
	s_delay_alu instid0(VALU_DEP_1) | instskip(NEXT) | instid1(VALU_DEP_2)
	v_and_b32_e32 v45, 0xf8, v45
	v_cmp_eq_u64_e32 vcc_lo, 0, v[4:5]
	s_delay_alu instid0(VALU_DEP_2)
	v_and_or_b32 v4, v4, 7, v45
	s_and_b32 s8, s8, vcc_lo
	s_delay_alu instid0(VALU_DEP_1) | instid1(SALU_CYCLE_1)
	v_cndmask_b32_e64 v4, v4, 0, s8
	s_delay_alu instid0(VALU_DEP_1)
	v_or_b32_e32 v77, v4, v46
.LBB0_427:                              ;   in Loop: Header=BB0_323 Depth=3
	s_or_b32 exec_lo, exec_lo, s21
                                        ; implicit-def: $vgpr46
.LBB0_428:                              ;   in Loop: Header=BB0_323 Depth=3
	s_and_not1_saveexec_b32 s8, s20
; %bb.429:                              ;   in Loop: Header=BB0_323 Depth=3
	v_or_b32_e32 v77, 0x7e, v46
; %bb.430:                              ;   in Loop: Header=BB0_323 Depth=3
	s_or_b32 exec_lo, exec_lo, s8
                                        ; implicit-def: $vgpr5
.LBB0_431:                              ;   in Loop: Header=BB0_323 Depth=3
	s_and_not1_saveexec_b32 s8, s19
; %bb.432:                              ;   in Loop: Header=BB0_323 Depth=3
	v_or_b32_e32 v77, 0x7f, v5
; %bb.433:                              ;   in Loop: Header=BB0_323 Depth=3
	s_or_b32 exec_lo, exec_lo, s8
	v_alignbit_b32 v4, v63, v73, v74
	v_dual_mov_b32 v5, v65 :: v_dual_mov_b32 v44, 0
	s_mov_b32 s8, exec_lo
	s_delay_alu instid0(VALU_DEP_2) | instskip(NEXT) | instid1(VALU_DEP_1)
	v_and_b32_e32 v45, 0xff, v4
	v_cmpx_ne_u16_e32 0, v45
	s_cbranch_execz .LBB0_439
; %bb.434:                              ;   in Loop: Header=BB0_323 Depth=3
	v_bfrev_b32_e32 v44, 1
	s_mov_b32 s19, exec_lo
	v_cmpx_ne_u16_e32 0x80, v45
	s_cbranch_execz .LBB0_438
; %bb.435:                              ;   in Loop: Header=BB0_323 Depth=3
	v_and_b32_e32 v45, 0x7f, v4
	v_mov_b32_e32 v44, 0x7f800001
	s_mov_b32 s20, exec_lo
	s_delay_alu instid0(VALU_DEP_2)
	v_cmpx_ne_u32_e32 0x7f, v45
	s_cbranch_execz .LBB0_437
; %bb.436:                              ;   in Loop: Header=BB0_323 Depth=3
	v_dual_lshrrev_b32 v46, 3, v45 :: v_dual_bitop2_b32 v44, 7, v4 bitop3:0x40
	v_cmp_gt_u32_e32 vcc_lo, 8, v45
	s_delay_alu instid0(VALU_DEP_2) | instskip(NEXT) | instid1(VALU_DEP_1)
	v_clz_i32_u32_e32 v44, v44
	v_min_u32_e32 v44, 32, v44
	s_delay_alu instid0(VALU_DEP_1) | instskip(SKIP_1) | instid1(VALU_DEP_1)
	v_subrev_nc_u32_e32 v47, 28, v44
	v_sub_nc_u32_e32 v44, 29, v44
	v_dual_cndmask_b32 v46, v46, v44, vcc_lo :: v_dual_cndmask_b32 v44, 0, v47, vcc_lo
	s_delay_alu instid0(VALU_DEP_1) | instskip(SKIP_1) | instid1(VALU_DEP_3)
	v_lshlrev_b64_e32 v[44:45], v44, v[4:5]
	v_lshlrev_b32_e32 v5, 24, v4
	v_lshl_add_u32 v45, v46, 23, 0x3c000000
	s_delay_alu instid0(VALU_DEP_2) | instskip(NEXT) | instid1(VALU_DEP_4)
	v_and_b32_e32 v5, 0x80000000, v5
	v_lshlrev_b32_e32 v44, 20, v44
	s_delay_alu instid0(VALU_DEP_1) | instskip(NEXT) | instid1(VALU_DEP_1)
	v_and_b32_e32 v44, 0x700000, v44
	v_or3_b32 v44, v44, v5, v45
.LBB0_437:                              ;   in Loop: Header=BB0_323 Depth=3
	s_or_b32 exec_lo, exec_lo, s20
.LBB0_438:                              ;   in Loop: Header=BB0_323 Depth=3
	s_delay_alu instid0(SALU_CYCLE_1)
	s_or_b32 exec_lo, exec_lo, s19
.LBB0_439:                              ;   in Loop: Header=BB0_323 Depth=3
	s_delay_alu instid0(SALU_CYCLE_1) | instskip(NEXT) | instid1(VALU_DEP_1)
	s_or_b32 exec_lo, exec_lo, s8
	v_dual_mul_f32 v44, v30, v44 :: v_dual_mov_b32 v47, v65
                                        ; implicit-def: $vgpr63
	s_mov_b32 s8, exec_lo
	s_delay_alu instid0(VALU_DEP_1) | instskip(SKIP_1) | instid1(VALU_DEP_2)
	v_and_b32_e32 v46, 0x7f800000, v44
	v_lshrrev_b32_e32 v5, 24, v44
	v_cmpx_ne_u64_e32 0x7f800000, v[46:47]
	s_xor_b32 s19, exec_lo, s8
	s_cbranch_execz .LBB0_453
; %bb.440:                              ;   in Loop: Header=BB0_323 Depth=3
	v_and_b32_e32 v46, 0x7fffffff, v44
	v_mov_b32_e32 v47, v65
	v_and_b32_e32 v5, 0x80, v5
                                        ; implicit-def: $vgpr63
	s_mov_b32 s8, exec_lo
	s_delay_alu instid0(VALU_DEP_2)
	v_cmpx_gt_u64_e32 0x43e00001, v[46:47]
	s_xor_b32 s20, exec_lo, s8
	s_cbranch_execz .LBB0_450
; %bb.441:                              ;   in Loop: Header=BB0_323 Depth=3
	v_mov_b32_e32 v63, 0
	s_mov_b32 s21, exec_lo
	v_cmpx_ne_u32_e32 0, v44
	s_cbranch_execz .LBB0_449
; %bb.442:                              ;   in Loop: Header=BB0_323 Depth=3
	v_bfe_u32 v63, v44, 23, 8
	v_and_b32_e32 v46, 0x7fffff, v44
	s_mov_b32 s22, exec_lo
	s_delay_alu instid0(VALU_DEP_2) | instskip(NEXT) | instid1(VALU_DEP_2)
	v_cmp_gt_u32_e32 vcc_lo, 0x7a, v63
	v_or_b32_e32 v47, 0x800000, v46
	v_sub_nc_u32_e32 v45, 0x79, v63
	s_delay_alu instid0(VALU_DEP_1) | instskip(SKIP_1) | instid1(VALU_DEP_4)
	v_cndmask_b32_e32 v45, 0, v45, vcc_lo
	v_cmp_eq_u32_e32 vcc_lo, 0, v63
	v_dual_cndmask_b32 v46, v47, v46 :: v_dual_mov_b32 v47, v65
	s_delay_alu instid0(VALU_DEP_3) | instskip(NEXT) | instid1(VALU_DEP_1)
	v_cndmask_b32_e64 v73, v45, 0x78, vcc_lo
	v_dual_add_nc_u32 v44, 20, v73 :: v_dual_add_nc_u32 v74, 19, v73
	s_delay_alu instid0(VALU_DEP_1) | instskip(NEXT) | instid1(VALU_DEP_2)
	v_lshlrev_b64_e64 v[44:45], v44, -1
	v_lshlrev_b64_e64 v[74:75], v74, 1
	s_delay_alu instid0(VALU_DEP_2) | instskip(NEXT) | instid1(VALU_DEP_3)
	v_bfi_b32 v79, v45, 0, 0
	v_bfi_b32 v78, v44, 0, v46
	v_lshrrev_b64 v[44:45], v73, v[46:47]
	s_delay_alu instid0(VALU_DEP_1) | instskip(NEXT) | instid1(VALU_DEP_3)
	v_mov_b64_e32 v[46:47], v[44:45]
	v_cmpx_eq_u64_e64 v[78:79], v[74:75]
; %bb.443:                              ;   in Loop: Header=BB0_323 Depth=3
	v_bfe_u32 v46, v44, 20, 1
	v_mov_b32_e32 v47, v65
	s_delay_alu instid0(VALU_DEP_1) | instskip(NEXT) | instid1(VALU_DEP_1)
	v_add_nc_u64_e32 v[46:47], v[44:45], v[46:47]
	v_add_nc_u64_e32 v[46:47], -1, v[46:47]
; %bb.444:                              ;   in Loop: Header=BB0_323 Depth=3
	s_or_b32 exec_lo, exec_lo, s22
	v_add_nc_u32_e32 v45, 0xffffff81, v63
	v_lshrrev_b32_e32 v47, 23, v44
	s_mov_b32 s8, exec_lo
	s_delay_alu instid0(VALU_DEP_2) | instskip(NEXT) | instid1(VALU_DEP_1)
	v_cndmask_b32_e64 v45, v45, 0xffffff82, vcc_lo
	v_add3_u32 v47, v73, v45, v47
	v_and_b32_e32 v45, 0xfffff, v46
                                        ; implicit-def: $vgpr46
	s_delay_alu instid0(VALU_DEP_1) | instskip(SKIP_1) | instid1(VALU_DEP_2)
	v_dual_add_nc_u32 v63, 6, v47 :: v_dual_add_nc_u32 v44, v45, v44
	v_mov_b32_e32 v45, v65
	v_cmpx_ne_u32_e32 0, v63
	s_xor_b32 s8, exec_lo, s8
; %bb.445:                              ;   in Loop: Header=BB0_323 Depth=3
	s_delay_alu instid0(VALU_DEP_2) | instskip(SKIP_2) | instid1(VALU_DEP_2)
	v_cmp_lt_u64_e32 vcc_lo, 0xffffff, v[44:45]
	v_add_nc_u32_e32 v46, 7, v47
	v_cndmask_b32_e64 v47, 0, 1, vcc_lo
	v_cndmask_b32_e32 v46, v63, v46, vcc_lo
	s_delay_alu instid0(VALU_DEP_2)
	v_lshrrev_b64 v[44:45], v47, v[44:45]
; %bb.446:                              ;   in Loop: Header=BB0_323 Depth=3
	s_and_not1_saveexec_b32 s8, s8
; %bb.447:                              ;   in Loop: Header=BB0_323 Depth=3
	s_delay_alu instid0(VALU_DEP_1)
	v_bfe_u32 v46, v44, 23, 1
; %bb.448:                              ;   in Loop: Header=BB0_323 Depth=3
	s_or_b32 exec_lo, exec_lo, s8
	s_delay_alu instid0(VALU_DEP_2) | instskip(NEXT) | instid1(VALU_DEP_2)
	v_lshrrev_b64 v[44:45], 20, v[44:45]
	v_cmp_gt_i32_e32 vcc_lo, 16, v46
	v_min_i32_e32 v47, 15, v46
	v_cmp_eq_u32_e64 s8, 0, v46
	s_delay_alu instid0(VALU_DEP_2) | instskip(SKIP_1) | instid1(VALU_DEP_2)
	v_dual_cndmask_b32 v45, 0, v45, vcc_lo :: v_dual_lshlrev_b32 v47, 3, v47
	v_cndmask_b32_e32 v44, 7, v44, vcc_lo
	v_and_b32_e32 v47, 0xf8, v47
	s_delay_alu instid0(VALU_DEP_2) | instskip(NEXT) | instid1(VALU_DEP_2)
	v_cmp_eq_u64_e32 vcc_lo, 0, v[44:45]
	v_and_or_b32 v44, v44, 7, v47
	s_and_b32 s8, s8, vcc_lo
	s_delay_alu instid0(VALU_DEP_1) | instid1(SALU_CYCLE_1)
	v_cndmask_b32_e64 v44, v44, 0, s8
	s_delay_alu instid0(VALU_DEP_1)
	v_or_b32_e32 v63, v44, v5
.LBB0_449:                              ;   in Loop: Header=BB0_323 Depth=3
	s_or_b32 exec_lo, exec_lo, s21
                                        ; implicit-def: $vgpr5
.LBB0_450:                              ;   in Loop: Header=BB0_323 Depth=3
	s_and_not1_saveexec_b32 s8, s20
; %bb.451:                              ;   in Loop: Header=BB0_323 Depth=3
	v_or_b32_e32 v63, 0x7e, v5
; %bb.452:                              ;   in Loop: Header=BB0_323 Depth=3
	s_or_b32 exec_lo, exec_lo, s8
                                        ; implicit-def: $vgpr5
.LBB0_453:                              ;   in Loop: Header=BB0_323 Depth=3
	s_and_not1_saveexec_b32 s8, s19
; %bb.454:                              ;   in Loop: Header=BB0_323 Depth=3
	v_or_b32_e32 v63, 0x7f, v5
; %bb.455:                              ;   in Loop: Header=BB0_323 Depth=3
	s_or_b32 exec_lo, exec_lo, s8
	v_lshrrev_b16 v44, 8, v4
	v_mov_b32_e32 v5, 0
	s_mov_b32 s8, exec_lo
	s_delay_alu instid0(VALU_DEP_2)
	v_cmpx_ne_u16_e32 0, v44
	s_cbranch_execz .LBB0_463
; %bb.456:                              ;   in Loop: Header=BB0_323 Depth=3
	v_bfrev_b32_e32 v5, 1
	s_mov_b32 s19, exec_lo
	v_cmpx_ne_u16_e32 0x80, v44
	s_cbranch_execz .LBB0_462
; %bb.457:                              ;   in Loop: Header=BB0_323 Depth=3
	v_and_b32_e32 v44, 0xffff, v44
	v_mov_b32_e32 v5, 0x7f800001
	s_mov_b32 s20, exec_lo
	s_delay_alu instid0(VALU_DEP_2) | instskip(NEXT) | instid1(VALU_DEP_1)
	v_and_b32_e32 v46, 0x7f, v44
	v_cmpx_ne_u32_e32 0x7f, v46
	s_cbranch_execz .LBB0_461
; %bb.458:                              ;   in Loop: Header=BB0_323 Depth=3
	v_dual_mov_b32 v45, v65 :: v_dual_bitop2_b32 v44, 7, v44 bitop3:0x40
	v_lshrrev_b32_e32 v5, 3, v46
	s_mov_b32 s21, exec_lo
	v_cmpx_gt_u32_e32 8, v46
; %bb.459:                              ;   in Loop: Header=BB0_323 Depth=3
	s_delay_alu instid0(VALU_DEP_3) | instskip(NEXT) | instid1(VALU_DEP_1)
	v_clz_i32_u32_e32 v5, v44
	v_min_u32_e32 v5, 32, v5
	s_delay_alu instid0(VALU_DEP_1) | instskip(NEXT) | instid1(VALU_DEP_1)
	v_subrev_nc_u32_e32 v46, 28, v5
	v_lshlrev_b64_e32 v[44:45], v46, v[44:45]
	s_delay_alu instid0(VALU_DEP_1)
	v_dual_sub_nc_u32 v5, 29, v5 :: v_dual_bitop2_b32 v44, 7, v44 bitop3:0x40
; %bb.460:                              ;   in Loop: Header=BB0_323 Depth=3
	s_or_b32 exec_lo, exec_lo, s21
	v_lshlrev_b32_e32 v45, 16, v4
	s_delay_alu instid0(VALU_DEP_2) | instskip(NEXT) | instid1(VALU_DEP_3)
	v_lshlrev_b32_e32 v44, 20, v44
	v_lshl_add_u32 v5, v5, 23, 0x3c000000
	s_delay_alu instid0(VALU_DEP_3) | instskip(NEXT) | instid1(VALU_DEP_1)
	v_and_b32_e32 v45, 0x80000000, v45
	v_or3_b32 v5, v44, v45, v5
.LBB0_461:                              ;   in Loop: Header=BB0_323 Depth=3
	s_or_b32 exec_lo, exec_lo, s20
.LBB0_462:                              ;   in Loop: Header=BB0_323 Depth=3
	s_delay_alu instid0(SALU_CYCLE_1)
	s_or_b32 exec_lo, exec_lo, s19
.LBB0_463:                              ;   in Loop: Header=BB0_323 Depth=3
	s_delay_alu instid0(SALU_CYCLE_1) | instskip(NEXT) | instid1(VALU_DEP_1)
	s_or_b32 exec_lo, exec_lo, s8
	v_dual_mul_f32 v44, v30, v5 :: v_dual_mov_b32 v47, v65
                                        ; implicit-def: $vgpr73
	s_mov_b32 s8, exec_lo
	s_delay_alu instid0(VALU_DEP_1) | instskip(SKIP_1) | instid1(VALU_DEP_2)
	v_and_b32_e32 v46, 0x7f800000, v44
	v_lshrrev_b32_e32 v5, 24, v44
	v_cmpx_ne_u64_e32 0x7f800000, v[46:47]
	s_xor_b32 s19, exec_lo, s8
	s_cbranch_execz .LBB0_477
; %bb.464:                              ;   in Loop: Header=BB0_323 Depth=3
	v_and_b32_e32 v46, 0x7fffffff, v44
	v_mov_b32_e32 v47, v65
	v_and_b32_e32 v5, 0x80, v5
                                        ; implicit-def: $vgpr73
	s_mov_b32 s8, exec_lo
	s_delay_alu instid0(VALU_DEP_2)
	v_cmpx_gt_u64_e32 0x43e00001, v[46:47]
	s_xor_b32 s20, exec_lo, s8
	s_cbranch_execz .LBB0_474
; %bb.465:                              ;   in Loop: Header=BB0_323 Depth=3
	v_mov_b32_e32 v73, 0
	s_mov_b32 s21, exec_lo
	v_cmpx_ne_u32_e32 0, v44
	s_cbranch_execz .LBB0_473
; %bb.466:                              ;   in Loop: Header=BB0_323 Depth=3
	v_bfe_u32 v73, v44, 23, 8
	v_and_b32_e32 v46, 0x7fffff, v44
	s_mov_b32 s22, exec_lo
	s_delay_alu instid0(VALU_DEP_2) | instskip(NEXT) | instid1(VALU_DEP_2)
	v_cmp_gt_u32_e32 vcc_lo, 0x7a, v73
	v_or_b32_e32 v47, 0x800000, v46
	v_sub_nc_u32_e32 v45, 0x79, v73
	s_delay_alu instid0(VALU_DEP_1) | instskip(SKIP_1) | instid1(VALU_DEP_2)
	v_cndmask_b32_e32 v45, 0, v45, vcc_lo
	v_cmp_eq_u32_e32 vcc_lo, 0, v73
	v_cndmask_b32_e64 v74, v45, 0x78, vcc_lo
	v_dual_cndmask_b32 v46, v47, v46 :: v_dual_mov_b32 v47, v65
	s_delay_alu instid0(VALU_DEP_2) | instskip(NEXT) | instid1(VALU_DEP_1)
	v_dual_add_nc_u32 v75, 19, v74 :: v_dual_add_nc_u32 v44, 20, v74
	v_lshlrev_b64_e64 v[78:79], v75, 1
	s_delay_alu instid0(VALU_DEP_2) | instskip(NEXT) | instid1(VALU_DEP_1)
	v_lshlrev_b64_e64 v[44:45], v44, -1
	v_bfi_b32 v89, v45, 0, 0
	s_delay_alu instid0(VALU_DEP_2) | instskip(SKIP_1) | instid1(VALU_DEP_1)
	v_bfi_b32 v88, v44, 0, v46
	v_lshrrev_b64 v[44:45], v74, v[46:47]
	v_mov_b64_e32 v[46:47], v[44:45]
	s_delay_alu instid0(VALU_DEP_3)
	v_cmpx_eq_u64_e64 v[88:89], v[78:79]
; %bb.467:                              ;   in Loop: Header=BB0_323 Depth=3
	v_bfe_u32 v46, v44, 20, 1
	v_mov_b32_e32 v47, v65
	s_delay_alu instid0(VALU_DEP_1) | instskip(NEXT) | instid1(VALU_DEP_1)
	v_add_nc_u64_e32 v[46:47], v[44:45], v[46:47]
	v_add_nc_u64_e32 v[46:47], -1, v[46:47]
; %bb.468:                              ;   in Loop: Header=BB0_323 Depth=3
	s_or_b32 exec_lo, exec_lo, s22
	v_add_nc_u32_e32 v45, 0xffffff81, v73
	v_lshrrev_b32_e32 v47, 23, v44
	s_mov_b32 s8, exec_lo
	s_delay_alu instid0(VALU_DEP_2) | instskip(NEXT) | instid1(VALU_DEP_1)
	v_cndmask_b32_e64 v45, v45, 0xffffff82, vcc_lo
	v_add3_u32 v47, v74, v45, v47
	v_and_b32_e32 v45, 0xfffff, v46
                                        ; implicit-def: $vgpr46
	s_delay_alu instid0(VALU_DEP_1) | instskip(SKIP_1) | instid1(VALU_DEP_2)
	v_dual_add_nc_u32 v73, 6, v47 :: v_dual_add_nc_u32 v44, v45, v44
	v_mov_b32_e32 v45, v65
	v_cmpx_ne_u32_e32 0, v73
	s_xor_b32 s8, exec_lo, s8
; %bb.469:                              ;   in Loop: Header=BB0_323 Depth=3
	s_delay_alu instid0(VALU_DEP_2) | instskip(SKIP_2) | instid1(VALU_DEP_2)
	v_cmp_lt_u64_e32 vcc_lo, 0xffffff, v[44:45]
	v_add_nc_u32_e32 v46, 7, v47
	v_cndmask_b32_e64 v47, 0, 1, vcc_lo
	v_cndmask_b32_e32 v46, v73, v46, vcc_lo
	s_delay_alu instid0(VALU_DEP_2)
	v_lshrrev_b64 v[44:45], v47, v[44:45]
; %bb.470:                              ;   in Loop: Header=BB0_323 Depth=3
	s_and_not1_saveexec_b32 s8, s8
; %bb.471:                              ;   in Loop: Header=BB0_323 Depth=3
	s_delay_alu instid0(VALU_DEP_1)
	v_bfe_u32 v46, v44, 23, 1
; %bb.472:                              ;   in Loop: Header=BB0_323 Depth=3
	s_or_b32 exec_lo, exec_lo, s8
	s_delay_alu instid0(VALU_DEP_2) | instskip(NEXT) | instid1(VALU_DEP_2)
	v_lshrrev_b64 v[44:45], 20, v[44:45]
	v_cmp_gt_i32_e32 vcc_lo, 16, v46
	v_min_i32_e32 v47, 15, v46
	v_cmp_eq_u32_e64 s8, 0, v46
	s_delay_alu instid0(VALU_DEP_2) | instskip(SKIP_1) | instid1(VALU_DEP_2)
	v_dual_cndmask_b32 v45, 0, v45, vcc_lo :: v_dual_lshlrev_b32 v47, 3, v47
	v_cndmask_b32_e32 v44, 7, v44, vcc_lo
	v_and_b32_e32 v47, 0xf8, v47
	s_delay_alu instid0(VALU_DEP_2) | instskip(NEXT) | instid1(VALU_DEP_2)
	v_cmp_eq_u64_e32 vcc_lo, 0, v[44:45]
	v_and_or_b32 v44, v44, 7, v47
	s_and_b32 s8, s8, vcc_lo
	s_delay_alu instid0(VALU_DEP_1) | instid1(SALU_CYCLE_1)
	v_cndmask_b32_e64 v44, v44, 0, s8
	s_delay_alu instid0(VALU_DEP_1)
	v_or_b32_e32 v73, v44, v5
.LBB0_473:                              ;   in Loop: Header=BB0_323 Depth=3
	s_or_b32 exec_lo, exec_lo, s21
                                        ; implicit-def: $vgpr5
.LBB0_474:                              ;   in Loop: Header=BB0_323 Depth=3
	s_and_not1_saveexec_b32 s8, s20
; %bb.475:                              ;   in Loop: Header=BB0_323 Depth=3
	v_or_b32_e32 v73, 0x7e, v5
; %bb.476:                              ;   in Loop: Header=BB0_323 Depth=3
	s_or_b32 exec_lo, exec_lo, s8
                                        ; implicit-def: $vgpr5
.LBB0_477:                              ;   in Loop: Header=BB0_323 Depth=3
	s_and_not1_saveexec_b32 s8, s19
; %bb.478:                              ;   in Loop: Header=BB0_323 Depth=3
	v_or_b32_e32 v73, 0x7f, v5
; %bb.479:                              ;   in Loop: Header=BB0_323 Depth=3
	s_or_b32 exec_lo, exec_lo, s8
	v_dual_mov_b32 v44, 0 :: v_dual_lshrrev_b32 v5, 16, v4
	s_mov_b32 s8, exec_lo
	s_delay_alu instid0(VALU_DEP_1) | instskip(NEXT) | instid1(VALU_DEP_1)
	v_and_b32_e32 v45, 0xff, v5
	v_cmpx_ne_u16_e32 0, v45
	s_cbranch_execz .LBB0_487
; %bb.480:                              ;   in Loop: Header=BB0_323 Depth=3
	v_bfrev_b32_e32 v44, 1
	s_mov_b32 s19, exec_lo
	v_cmpx_ne_u16_e32 0x80, v45
	s_cbranch_execz .LBB0_486
; %bb.481:                              ;   in Loop: Header=BB0_323 Depth=3
	v_bfe_u32 v47, v4, 16, 7
	v_mov_b32_e32 v44, 0x7f800001
	s_mov_b32 s20, exec_lo
	s_delay_alu instid0(VALU_DEP_2)
	v_cmpx_ne_u32_e32 0x7f, v47
	s_cbranch_execz .LBB0_485
; %bb.482:                              ;   in Loop: Header=BB0_323 Depth=3
	v_dual_mov_b32 v45, v65 :: v_dual_bitop2_b32 v44, 7, v5 bitop3:0x40
	v_lshrrev_b32_e32 v46, 3, v47
	s_mov_b32 s21, exec_lo
	v_cmpx_gt_u32_e32 8, v47
; %bb.483:                              ;   in Loop: Header=BB0_323 Depth=3
	s_delay_alu instid0(VALU_DEP_3) | instskip(NEXT) | instid1(VALU_DEP_1)
	v_clz_i32_u32_e32 v46, v44
	v_min_u32_e32 v46, 32, v46
	s_delay_alu instid0(VALU_DEP_1) | instskip(NEXT) | instid1(VALU_DEP_1)
	v_subrev_nc_u32_e32 v47, 28, v46
	v_lshlrev_b64_e32 v[44:45], v47, v[44:45]
	s_delay_alu instid0(VALU_DEP_1)
	v_dual_sub_nc_u32 v46, 29, v46 :: v_dual_bitop2_b32 v44, 7, v44 bitop3:0x40
; %bb.484:                              ;   in Loop: Header=BB0_323 Depth=3
	s_or_b32 exec_lo, exec_lo, s21
	s_delay_alu instid0(VALU_DEP_1) | instskip(NEXT) | instid1(VALU_DEP_2)
	v_dual_lshlrev_b32 v5, 24, v5 :: v_dual_lshlrev_b32 v44, 20, v44
	v_lshl_add_u32 v45, v46, 23, 0x3c000000
	s_delay_alu instid0(VALU_DEP_2) | instskip(NEXT) | instid1(VALU_DEP_1)
	v_and_b32_e32 v5, 0x80000000, v5
	v_or3_b32 v44, v44, v5, v45
.LBB0_485:                              ;   in Loop: Header=BB0_323 Depth=3
	s_or_b32 exec_lo, exec_lo, s20
.LBB0_486:                              ;   in Loop: Header=BB0_323 Depth=3
	s_delay_alu instid0(SALU_CYCLE_1)
	s_or_b32 exec_lo, exec_lo, s19
.LBB0_487:                              ;   in Loop: Header=BB0_323 Depth=3
	s_delay_alu instid0(SALU_CYCLE_1) | instskip(NEXT) | instid1(VALU_DEP_1)
	s_or_b32 exec_lo, exec_lo, s8
	v_dual_mul_f32 v44, v30, v44 :: v_dual_mov_b32 v47, v65
                                        ; implicit-def: $vgpr74
	s_mov_b32 s8, exec_lo
	s_delay_alu instid0(VALU_DEP_1) | instskip(SKIP_1) | instid1(VALU_DEP_2)
	v_and_b32_e32 v46, 0x7f800000, v44
	v_lshrrev_b32_e32 v5, 24, v44
	v_cmpx_ne_u64_e32 0x7f800000, v[46:47]
	s_xor_b32 s19, exec_lo, s8
	s_cbranch_execz .LBB0_501
; %bb.488:                              ;   in Loop: Header=BB0_323 Depth=3
	v_and_b32_e32 v46, 0x7fffffff, v44
	v_mov_b32_e32 v47, v65
	v_and_b32_e32 v5, 0x80, v5
                                        ; implicit-def: $vgpr74
	s_mov_b32 s8, exec_lo
	s_delay_alu instid0(VALU_DEP_2)
	v_cmpx_gt_u64_e32 0x43e00001, v[46:47]
	s_xor_b32 s20, exec_lo, s8
	s_cbranch_execz .LBB0_498
; %bb.489:                              ;   in Loop: Header=BB0_323 Depth=3
	v_mov_b32_e32 v74, 0
	s_mov_b32 s21, exec_lo
	v_cmpx_ne_u32_e32 0, v44
	s_cbranch_execz .LBB0_497
; %bb.490:                              ;   in Loop: Header=BB0_323 Depth=3
	v_bfe_u32 v74, v44, 23, 8
	v_and_b32_e32 v46, 0x7fffff, v44
	s_mov_b32 s22, exec_lo
	s_delay_alu instid0(VALU_DEP_2) | instskip(SKIP_1) | instid1(VALU_DEP_3)
	v_sub_nc_u32_e32 v45, 0x79, v74
	v_cmp_gt_u32_e32 vcc_lo, 0x7a, v74
	v_or_b32_e32 v47, 0x800000, v46
	s_delay_alu instid0(VALU_DEP_3) | instskip(SKIP_1) | instid1(VALU_DEP_2)
	v_cndmask_b32_e32 v45, 0, v45, vcc_lo
	v_cmp_eq_u32_e32 vcc_lo, 0, v74
	v_cndmask_b32_e64 v75, v45, 0x78, vcc_lo
	s_delay_alu instid0(VALU_DEP_4) | instskip(NEXT) | instid1(VALU_DEP_2)
	v_dual_cndmask_b32 v46, v47, v46 :: v_dual_mov_b32 v47, v65
	v_dual_add_nc_u32 v44, 20, v75 :: v_dual_add_nc_u32 v78, 19, v75
	s_delay_alu instid0(VALU_DEP_1) | instskip(NEXT) | instid1(VALU_DEP_2)
	v_lshlrev_b64_e64 v[44:45], v44, -1
	v_lshlrev_b64_e64 v[78:79], v78, 1
	s_delay_alu instid0(VALU_DEP_2) | instskip(NEXT) | instid1(VALU_DEP_3)
	v_bfi_b32 v89, v45, 0, 0
	v_bfi_b32 v88, v44, 0, v46
	v_lshrrev_b64 v[44:45], v75, v[46:47]
	s_delay_alu instid0(VALU_DEP_1) | instskip(NEXT) | instid1(VALU_DEP_3)
	v_mov_b64_e32 v[46:47], v[44:45]
	v_cmpx_eq_u64_e64 v[88:89], v[78:79]
; %bb.491:                              ;   in Loop: Header=BB0_323 Depth=3
	v_bfe_u32 v46, v44, 20, 1
	v_mov_b32_e32 v47, v65
	s_delay_alu instid0(VALU_DEP_1) | instskip(NEXT) | instid1(VALU_DEP_1)
	v_add_nc_u64_e32 v[46:47], v[44:45], v[46:47]
	v_add_nc_u64_e32 v[46:47], -1, v[46:47]
; %bb.492:                              ;   in Loop: Header=BB0_323 Depth=3
	s_or_b32 exec_lo, exec_lo, s22
	v_add_nc_u32_e32 v45, 0xffffff81, v74
	v_lshrrev_b32_e32 v47, 23, v44
	s_mov_b32 s8, exec_lo
	s_delay_alu instid0(VALU_DEP_2) | instskip(NEXT) | instid1(VALU_DEP_1)
	v_cndmask_b32_e64 v45, v45, 0xffffff82, vcc_lo
	v_add3_u32 v47, v75, v45, v47
	v_and_b32_e32 v45, 0xfffff, v46
                                        ; implicit-def: $vgpr46
	s_delay_alu instid0(VALU_DEP_1) | instskip(SKIP_1) | instid1(VALU_DEP_2)
	v_dual_add_nc_u32 v74, 6, v47 :: v_dual_add_nc_u32 v44, v45, v44
	v_mov_b32_e32 v45, v65
	v_cmpx_ne_u32_e32 0, v74
	s_xor_b32 s8, exec_lo, s8
; %bb.493:                              ;   in Loop: Header=BB0_323 Depth=3
	s_delay_alu instid0(VALU_DEP_2) | instskip(SKIP_2) | instid1(VALU_DEP_2)
	v_cmp_lt_u64_e32 vcc_lo, 0xffffff, v[44:45]
	v_add_nc_u32_e32 v46, 7, v47
	v_cndmask_b32_e64 v47, 0, 1, vcc_lo
	v_cndmask_b32_e32 v46, v74, v46, vcc_lo
	s_delay_alu instid0(VALU_DEP_2)
	v_lshrrev_b64 v[44:45], v47, v[44:45]
; %bb.494:                              ;   in Loop: Header=BB0_323 Depth=3
	s_and_not1_saveexec_b32 s8, s8
; %bb.495:                              ;   in Loop: Header=BB0_323 Depth=3
	s_delay_alu instid0(VALU_DEP_1)
	v_bfe_u32 v46, v44, 23, 1
; %bb.496:                              ;   in Loop: Header=BB0_323 Depth=3
	s_or_b32 exec_lo, exec_lo, s8
	s_delay_alu instid0(VALU_DEP_2) | instskip(NEXT) | instid1(VALU_DEP_2)
	v_lshrrev_b64 v[44:45], 20, v[44:45]
	v_cmp_gt_i32_e32 vcc_lo, 16, v46
	v_min_i32_e32 v47, 15, v46
	v_cmp_eq_u32_e64 s8, 0, v46
	s_delay_alu instid0(VALU_DEP_2) | instskip(SKIP_1) | instid1(VALU_DEP_2)
	v_dual_cndmask_b32 v45, 0, v45, vcc_lo :: v_dual_lshlrev_b32 v47, 3, v47
	v_cndmask_b32_e32 v44, 7, v44, vcc_lo
	v_and_b32_e32 v47, 0xf8, v47
	s_delay_alu instid0(VALU_DEP_2) | instskip(NEXT) | instid1(VALU_DEP_2)
	v_cmp_eq_u64_e32 vcc_lo, 0, v[44:45]
	v_and_or_b32 v44, v44, 7, v47
	s_and_b32 s8, s8, vcc_lo
	s_delay_alu instid0(VALU_DEP_1) | instid1(SALU_CYCLE_1)
	v_cndmask_b32_e64 v44, v44, 0, s8
	s_delay_alu instid0(VALU_DEP_1)
	v_or_b32_e32 v74, v44, v5
.LBB0_497:                              ;   in Loop: Header=BB0_323 Depth=3
	s_or_b32 exec_lo, exec_lo, s21
                                        ; implicit-def: $vgpr5
.LBB0_498:                              ;   in Loop: Header=BB0_323 Depth=3
	s_and_not1_saveexec_b32 s8, s20
; %bb.499:                              ;   in Loop: Header=BB0_323 Depth=3
	v_or_b32_e32 v74, 0x7e, v5
; %bb.500:                              ;   in Loop: Header=BB0_323 Depth=3
	s_or_b32 exec_lo, exec_lo, s8
                                        ; implicit-def: $vgpr5
.LBB0_501:                              ;   in Loop: Header=BB0_323 Depth=3
	s_and_not1_saveexec_b32 s8, s19
; %bb.502:                              ;   in Loop: Header=BB0_323 Depth=3
	v_or_b32_e32 v74, 0x7f, v5
; %bb.503:                              ;   in Loop: Header=BB0_323 Depth=3
	s_or_b32 exec_lo, exec_lo, s8
	v_mov_b32_e32 v5, 0
	s_mov_b32 s8, exec_lo
	v_cmpx_lt_u32_e32 0xffffff, v4
	s_cbranch_execz .LBB0_511
; %bb.504:                              ;   in Loop: Header=BB0_323 Depth=3
	v_lshrrev_b32_e32 v44, 24, v4
	v_bfrev_b32_e32 v5, 1
	s_mov_b32 s19, exec_lo
	s_delay_alu instid0(VALU_DEP_2)
	v_cmpx_ne_u32_e32 0x80, v44
	s_cbranch_execz .LBB0_510
; %bb.505:                              ;   in Loop: Header=BB0_323 Depth=3
	v_bfe_u32 v46, v4, 24, 7
	v_mov_b32_e32 v5, 0x7f800001
	s_mov_b32 s20, exec_lo
	s_delay_alu instid0(VALU_DEP_2)
	v_cmpx_ne_u32_e32 0x7f, v46
	s_cbranch_execz .LBB0_509
; %bb.506:                              ;   in Loop: Header=BB0_323 Depth=3
	v_dual_mov_b32 v5, v65 :: v_dual_bitop2_b32 v4, 7, v44 bitop3:0x40
	v_lshrrev_b32_e32 v45, 3, v46
	s_mov_b32 s21, exec_lo
	v_cmpx_gt_u32_e32 8, v46
; %bb.507:                              ;   in Loop: Header=BB0_323 Depth=3
	s_delay_alu instid0(VALU_DEP_3) | instskip(NEXT) | instid1(VALU_DEP_1)
	v_clz_i32_u32_e32 v45, v4
	v_min_u32_e32 v45, 32, v45
	s_delay_alu instid0(VALU_DEP_1) | instskip(NEXT) | instid1(VALU_DEP_1)
	v_subrev_nc_u32_e32 v46, 28, v45
	v_lshlrev_b64_e32 v[4:5], v46, v[4:5]
	s_delay_alu instid0(VALU_DEP_1)
	v_dual_sub_nc_u32 v45, 29, v45 :: v_dual_bitop2_b32 v4, 7, v4 bitop3:0x40
; %bb.508:                              ;   in Loop: Header=BB0_323 Depth=3
	s_or_b32 exec_lo, exec_lo, s21
	v_lshlrev_b32_e32 v5, 24, v44
	s_delay_alu instid0(VALU_DEP_2) | instskip(NEXT) | instid1(VALU_DEP_3)
	v_lshlrev_b32_e32 v4, 20, v4
	v_lshl_add_u32 v44, v45, 23, 0x3c000000
	s_delay_alu instid0(VALU_DEP_3) | instskip(NEXT) | instid1(VALU_DEP_1)
	v_and_b32_e32 v5, 0x80000000, v5
	v_or3_b32 v5, v4, v5, v44
.LBB0_509:                              ;   in Loop: Header=BB0_323 Depth=3
	s_or_b32 exec_lo, exec_lo, s20
.LBB0_510:                              ;   in Loop: Header=BB0_323 Depth=3
	s_delay_alu instid0(SALU_CYCLE_1)
	s_or_b32 exec_lo, exec_lo, s19
.LBB0_511:                              ;   in Loop: Header=BB0_323 Depth=3
	s_delay_alu instid0(SALU_CYCLE_1) | instskip(NEXT) | instid1(VALU_DEP_1)
	s_or_b32 exec_lo, exec_lo, s8
	v_dual_mul_f32 v4, v30, v5 :: v_dual_mov_b32 v45, v65
                                        ; implicit-def: $vgpr75
	s_mov_b32 s8, exec_lo
	s_delay_alu instid0(VALU_DEP_1) | instskip(SKIP_1) | instid1(VALU_DEP_2)
	v_and_b32_e32 v44, 0x7f800000, v4
	v_lshrrev_b32_e32 v5, 24, v4
	v_cmpx_ne_u64_e32 0x7f800000, v[44:45]
	s_xor_b32 s19, exec_lo, s8
	s_cbranch_execz .LBB0_525
; %bb.512:                              ;   in Loop: Header=BB0_323 Depth=3
	v_and_b32_e32 v44, 0x7fffffff, v4
	v_mov_b32_e32 v45, v65
	v_and_b32_e32 v46, 0x80, v5
                                        ; implicit-def: $vgpr75
	s_mov_b32 s8, exec_lo
	s_delay_alu instid0(VALU_DEP_2)
	v_cmpx_gt_u64_e32 0x43e00001, v[44:45]
	s_xor_b32 s20, exec_lo, s8
	s_cbranch_execz .LBB0_522
; %bb.513:                              ;   in Loop: Header=BB0_323 Depth=3
	v_mov_b32_e32 v75, 0
	s_mov_b32 s21, exec_lo
	v_cmpx_ne_u32_e32 0, v4
	s_cbranch_execz .LBB0_521
; %bb.514:                              ;   in Loop: Header=BB0_323 Depth=3
	v_bfe_u32 v47, v4, 23, 8
	v_and_b32_e32 v44, 0x7fffff, v4
	s_mov_b32 s22, exec_lo
	s_delay_alu instid0(VALU_DEP_2) | instskip(NEXT) | instid1(VALU_DEP_2)
	v_cmp_gt_u32_e32 vcc_lo, 0x7a, v47
	v_or_b32_e32 v45, 0x800000, v44
	v_sub_nc_u32_e32 v5, 0x79, v47
	s_delay_alu instid0(VALU_DEP_1) | instskip(SKIP_1) | instid1(VALU_DEP_2)
	v_cndmask_b32_e32 v5, 0, v5, vcc_lo
	v_cmp_eq_u32_e32 vcc_lo, 0, v47
	v_cndmask_b32_e64 v75, v5, 0x78, vcc_lo
	v_cndmask_b32_e32 v44, v45, v44, vcc_lo
	s_delay_alu instid0(VALU_DEP_2) | instskip(SKIP_1) | instid1(VALU_DEP_2)
	v_dual_mov_b32 v45, v65 :: v_dual_add_nc_u32 v78, 19, v75
	v_add_nc_u32_e32 v4, 20, v75
	v_lshlrev_b64_e64 v[78:79], v78, 1
	s_delay_alu instid0(VALU_DEP_2) | instskip(NEXT) | instid1(VALU_DEP_1)
	v_lshlrev_b64_e64 v[4:5], v4, -1
	v_bfi_b32 v89, v5, 0, 0
	s_delay_alu instid0(VALU_DEP_2) | instskip(SKIP_1) | instid1(VALU_DEP_1)
	v_bfi_b32 v88, v4, 0, v44
	v_lshrrev_b64 v[4:5], v75, v[44:45]
	v_mov_b64_e32 v[44:45], v[4:5]
	s_delay_alu instid0(VALU_DEP_3)
	v_cmpx_eq_u64_e64 v[88:89], v[78:79]
; %bb.515:                              ;   in Loop: Header=BB0_323 Depth=3
	v_bfe_u32 v44, v4, 20, 1
	v_mov_b32_e32 v45, v65
	s_delay_alu instid0(VALU_DEP_1) | instskip(NEXT) | instid1(VALU_DEP_1)
	v_add_nc_u64_e32 v[44:45], v[4:5], v[44:45]
	v_add_nc_u64_e32 v[44:45], -1, v[44:45]
; %bb.516:                              ;   in Loop: Header=BB0_323 Depth=3
	s_or_b32 exec_lo, exec_lo, s22
	v_add_nc_u32_e32 v5, 0xffffff81, v47
	v_lshrrev_b32_e32 v45, 23, v4
	s_mov_b32 s8, exec_lo
	s_delay_alu instid0(VALU_DEP_2) | instskip(NEXT) | instid1(VALU_DEP_1)
	v_cndmask_b32_e64 v5, v5, 0xffffff82, vcc_lo
	v_add3_u32 v45, v75, v5, v45
	v_and_b32_e32 v5, 0xfffff, v44
                                        ; implicit-def: $vgpr44
	s_delay_alu instid0(VALU_DEP_1) | instskip(SKIP_1) | instid1(VALU_DEP_2)
	v_dual_add_nc_u32 v47, 6, v45 :: v_dual_add_nc_u32 v4, v5, v4
	v_mov_b32_e32 v5, v65
	v_cmpx_ne_u32_e32 0, v47
	s_xor_b32 s8, exec_lo, s8
; %bb.517:                              ;   in Loop: Header=BB0_323 Depth=3
	s_delay_alu instid0(VALU_DEP_2) | instskip(SKIP_2) | instid1(VALU_DEP_2)
	v_cmp_lt_u64_e32 vcc_lo, 0xffffff, v[4:5]
	v_add_nc_u32_e32 v44, 7, v45
	v_cndmask_b32_e64 v45, 0, 1, vcc_lo
	v_cndmask_b32_e32 v44, v47, v44, vcc_lo
	s_delay_alu instid0(VALU_DEP_2)
	v_lshrrev_b64 v[4:5], v45, v[4:5]
; %bb.518:                              ;   in Loop: Header=BB0_323 Depth=3
	s_and_not1_saveexec_b32 s8, s8
; %bb.519:                              ;   in Loop: Header=BB0_323 Depth=3
	s_delay_alu instid0(VALU_DEP_1)
	v_bfe_u32 v44, v4, 23, 1
; %bb.520:                              ;   in Loop: Header=BB0_323 Depth=3
	s_or_b32 exec_lo, exec_lo, s8
	s_delay_alu instid0(VALU_DEP_2) | instskip(NEXT) | instid1(VALU_DEP_2)
	v_lshrrev_b64 v[4:5], 20, v[4:5]
	v_cmp_gt_i32_e32 vcc_lo, 16, v44
	v_min_i32_e32 v45, 15, v44
	v_cmp_eq_u32_e64 s8, 0, v44
	s_delay_alu instid0(VALU_DEP_4) | instskip(NEXT) | instid1(VALU_DEP_3)
	v_cndmask_b32_e32 v5, 0, v5, vcc_lo
	v_dual_cndmask_b32 v4, 7, v4 :: v_dual_lshlrev_b32 v45, 3, v45
	s_delay_alu instid0(VALU_DEP_1) | instskip(NEXT) | instid1(VALU_DEP_2)
	v_and_b32_e32 v45, 0xf8, v45
	v_cmp_eq_u64_e32 vcc_lo, 0, v[4:5]
	s_delay_alu instid0(VALU_DEP_2)
	v_and_or_b32 v4, v4, 7, v45
	s_and_b32 s8, s8, vcc_lo
	s_delay_alu instid0(VALU_DEP_1) | instid1(SALU_CYCLE_1)
	v_cndmask_b32_e64 v4, v4, 0, s8
	s_delay_alu instid0(VALU_DEP_1)
	v_or_b32_e32 v75, v4, v46
.LBB0_521:                              ;   in Loop: Header=BB0_323 Depth=3
	s_or_b32 exec_lo, exec_lo, s21
                                        ; implicit-def: $vgpr46
.LBB0_522:                              ;   in Loop: Header=BB0_323 Depth=3
	s_and_not1_saveexec_b32 s8, s20
; %bb.523:                              ;   in Loop: Header=BB0_323 Depth=3
	v_or_b32_e32 v75, 0x7e, v46
; %bb.524:                              ;   in Loop: Header=BB0_323 Depth=3
	s_or_b32 exec_lo, exec_lo, s8
                                        ; implicit-def: $vgpr5
.LBB0_525:                              ;   in Loop: Header=BB0_323 Depth=3
	s_and_not1_saveexec_b32 s8, s19
; %bb.526:                              ;   in Loop: Header=BB0_323 Depth=3
	v_or_b32_e32 v75, 0x7f, v5
; %bb.527:                              ;   in Loop: Header=BB0_323 Depth=3
	s_or_b32 exec_lo, exec_lo, s8
	s_wait_loadcnt 0x0
	v_and_b32_e32 v4, 0xff, v16
	v_dual_mov_b32 v44, 0 :: v_dual_mov_b32 v45, 0
	s_mov_b32 s8, exec_lo
	s_delay_alu instid0(VALU_DEP_2)
	v_cmpx_ne_u16_e32 0, v4
	s_cbranch_execz .LBB0_533
; %bb.528:                              ;   in Loop: Header=BB0_323 Depth=3
	v_bfrev_b32_e32 v45, 1
	s_mov_b32 s19, exec_lo
	v_cmpx_ne_u16_e32 0x80, v4
	s_cbranch_execz .LBB0_532
; %bb.529:                              ;   in Loop: Header=BB0_323 Depth=3
	v_and_b32_e32 v4, 0x7f, v16
	v_mov_b32_e32 v45, 0x7f800001
	s_mov_b32 s20, exec_lo
	s_delay_alu instid0(VALU_DEP_2)
	v_cmpx_ne_u32_e32 0x7f, v4
	s_cbranch_execz .LBB0_531
; %bb.530:                              ;   in Loop: Header=BB0_323 Depth=3
	v_cmp_gt_u32_e32 vcc_lo, 8, v4
	v_and_b32_e32 v5, 7, v16
	s_delay_alu instid0(VALU_DEP_1) | instskip(NEXT) | instid1(VALU_DEP_1)
	v_clz_i32_u32_e32 v5, v5
	v_min_u32_e32 v5, 32, v5
	v_lshrrev_b32_e32 v45, 3, v4
	s_delay_alu instid0(VALU_DEP_2) | instskip(NEXT) | instid1(VALU_DEP_1)
	v_subrev_nc_u32_e32 v46, 28, v5
	v_dual_cndmask_b32 v4, 0, v46 :: v_dual_sub_nc_u32 v5, 29, v5
	s_delay_alu instid0(VALU_DEP_1) | instskip(NEXT) | instid1(VALU_DEP_2)
	v_cndmask_b32_e32 v45, v45, v5, vcc_lo
	v_lshlrev_b64_e32 v[4:5], v4, v[16:17]
	v_lshlrev_b32_e32 v5, 24, v16
	s_delay_alu instid0(VALU_DEP_3) | instskip(NEXT) | instid1(VALU_DEP_2)
	v_lshl_add_u32 v17, v45, 23, 0x3c000000
	v_and_b32_e32 v5, 0x80000000, v5
	s_delay_alu instid0(VALU_DEP_4) | instskip(NEXT) | instid1(VALU_DEP_1)
	v_lshlrev_b32_e32 v4, 20, v4
	v_and_b32_e32 v4, 0x700000, v4
	s_delay_alu instid0(VALU_DEP_1)
	v_or3_b32 v45, v4, v5, v17
.LBB0_531:                              ;   in Loop: Header=BB0_323 Depth=3
	s_or_b32 exec_lo, exec_lo, s20
.LBB0_532:                              ;   in Loop: Header=BB0_323 Depth=3
	s_delay_alu instid0(SALU_CYCLE_1)
	s_or_b32 exec_lo, exec_lo, s19
.LBB0_533:                              ;   in Loop: Header=BB0_323 Depth=3
	s_delay_alu instid0(SALU_CYCLE_1) | instskip(SKIP_4) | instid1(VALU_DEP_2)
	s_or_b32 exec_lo, exec_lo, s8
	v_lshl_or_b32 v17, v72, 8, v2
	v_dual_lshlrev_b32 v4, 16, v76 :: v_dual_lshlrev_b32 v46, 24, v77
	v_mov_b32_e32 v5, v65
	s_mov_b32 s8, exec_lo
	v_or3_b32 v4, v4, v46, v17
	v_cmpx_ne_u32_e32 0, v2
	s_cbranch_execz .LBB0_539
; %bb.534:                              ;   in Loop: Header=BB0_323 Depth=3
	v_bfrev_b32_e32 v44, 1
	s_mov_b32 s19, exec_lo
	v_cmpx_ne_u32_e32 0x80, v2
	s_cbranch_execz .LBB0_538
; %bb.535:                              ;   in Loop: Header=BB0_323 Depth=3
	v_and_b32_e32 v46, 0x7f, v2
	v_mov_b32_e32 v44, 0x7f800001
	s_mov_b32 s20, exec_lo
	s_delay_alu instid0(VALU_DEP_2)
	v_cmpx_ne_u32_e32 0x7f, v46
	s_cbranch_execz .LBB0_537
; %bb.536:                              ;   in Loop: Header=BB0_323 Depth=3
	v_cmp_gt_u32_e32 vcc_lo, 8, v46
	v_and_b32_e32 v2, 7, v2
	v_lshrrev_b32_e32 v44, 3, v46
	s_delay_alu instid0(VALU_DEP_2) | instskip(NEXT) | instid1(VALU_DEP_1)
	v_clz_i32_u32_e32 v2, v2
	v_min_u32_e32 v2, 32, v2
	s_delay_alu instid0(VALU_DEP_1) | instskip(SKIP_1) | instid1(VALU_DEP_1)
	v_subrev_nc_u32_e32 v47, 28, v2
	v_sub_nc_u32_e32 v2, 29, v2
	v_dual_cndmask_b32 v2, v44, v2, vcc_lo :: v_dual_cndmask_b32 v44, 0, v47, vcc_lo
	s_delay_alu instid0(VALU_DEP_1) | instskip(NEXT) | instid1(VALU_DEP_2)
	v_lshl_add_u32 v2, v2, 23, 0x3c000000
	v_lshlrev_b64_e32 v[46:47], v44, v[4:5]
	v_lshlrev_b32_e32 v5, 24, v4
	s_delay_alu instid0(VALU_DEP_1) | instskip(NEXT) | instid1(VALU_DEP_3)
	v_and_b32_e32 v5, 0x80000000, v5
	v_lshlrev_b32_e32 v44, 20, v46
	s_delay_alu instid0(VALU_DEP_1) | instskip(NEXT) | instid1(VALU_DEP_1)
	v_and_b32_e32 v44, 0x700000, v44
	v_or3_b32 v44, v44, v5, v2
.LBB0_537:                              ;   in Loop: Header=BB0_323 Depth=3
	s_or_b32 exec_lo, exec_lo, s20
.LBB0_538:                              ;   in Loop: Header=BB0_323 Depth=3
	s_delay_alu instid0(SALU_CYCLE_1)
	s_or_b32 exec_lo, exec_lo, s19
.LBB0_539:                              ;   in Loop: Header=BB0_323 Depth=3
	s_delay_alu instid0(SALU_CYCLE_1) | instskip(NEXT) | instid1(VALU_DEP_1)
	s_or_b32 exec_lo, exec_lo, s8
	v_add_f32_e32 v44, v45, v44
	v_mov_b32_e32 v47, v65
                                        ; implicit-def: $vgpr2
	s_mov_b32 s8, exec_lo
	s_delay_alu instid0(VALU_DEP_2) | instskip(SKIP_1) | instid1(VALU_DEP_2)
	v_and_b32_e32 v46, 0x7f800000, v44
	v_lshrrev_b32_e32 v5, 24, v44
	v_cmpx_ne_u64_e32 0x7f800000, v[46:47]
	s_xor_b32 s19, exec_lo, s8
	s_cbranch_execz .LBB0_553
; %bb.540:                              ;   in Loop: Header=BB0_323 Depth=3
	v_and_b32_e32 v46, 0x7fffffff, v44
	v_mov_b32_e32 v47, v65
	v_and_b32_e32 v5, 0x80, v5
                                        ; implicit-def: $vgpr2
	s_mov_b32 s8, exec_lo
	s_delay_alu instid0(VALU_DEP_2)
	v_cmpx_gt_u64_e32 0x43e00001, v[46:47]
	s_xor_b32 s20, exec_lo, s8
	s_cbranch_execz .LBB0_550
; %bb.541:                              ;   in Loop: Header=BB0_323 Depth=3
	v_mov_b32_e32 v2, 0
	s_mov_b32 s21, exec_lo
	v_cmpx_ne_u32_e32 0, v44
	s_cbranch_execz .LBB0_549
; %bb.542:                              ;   in Loop: Header=BB0_323 Depth=3
	v_bfe_u32 v2, v44, 23, 8
	v_and_b32_e32 v46, 0x7fffff, v44
	s_mov_b32 s22, exec_lo
	s_delay_alu instid0(VALU_DEP_2) | instskip(SKIP_1) | instid1(VALU_DEP_3)
	v_sub_nc_u32_e32 v45, 0x79, v2
	v_cmp_gt_u32_e32 vcc_lo, 0x7a, v2
	v_or_b32_e32 v47, 0x800000, v46
	s_delay_alu instid0(VALU_DEP_3) | instskip(SKIP_1) | instid1(VALU_DEP_2)
	v_cndmask_b32_e32 v45, 0, v45, vcc_lo
	v_cmp_eq_u32_e32 vcc_lo, 0, v2
	v_cndmask_b32_e64 v72, v45, 0x78, vcc_lo
	s_delay_alu instid0(VALU_DEP_4) | instskip(NEXT) | instid1(VALU_DEP_2)
	v_dual_cndmask_b32 v46, v47, v46 :: v_dual_mov_b32 v47, v65
	v_dual_add_nc_u32 v44, 20, v72 :: v_dual_add_nc_u32 v76, 19, v72
	s_delay_alu instid0(VALU_DEP_1) | instskip(NEXT) | instid1(VALU_DEP_2)
	v_lshlrev_b64_e64 v[44:45], v44, -1
	v_lshlrev_b64_e64 v[76:77], v76, 1
	s_delay_alu instid0(VALU_DEP_2) | instskip(NEXT) | instid1(VALU_DEP_3)
	v_bfi_b32 v79, v45, 0, 0
	v_bfi_b32 v78, v44, 0, v46
	v_lshrrev_b64 v[44:45], v72, v[46:47]
	s_delay_alu instid0(VALU_DEP_1) | instskip(NEXT) | instid1(VALU_DEP_3)
	v_mov_b64_e32 v[46:47], v[44:45]
	v_cmpx_eq_u64_e64 v[78:79], v[76:77]
; %bb.543:                              ;   in Loop: Header=BB0_323 Depth=3
	v_bfe_u32 v46, v44, 20, 1
	v_mov_b32_e32 v47, v65
	s_delay_alu instid0(VALU_DEP_1) | instskip(NEXT) | instid1(VALU_DEP_1)
	v_add_nc_u64_e32 v[46:47], v[44:45], v[46:47]
	v_add_nc_u64_e32 v[46:47], -1, v[46:47]
; %bb.544:                              ;   in Loop: Header=BB0_323 Depth=3
	s_or_b32 exec_lo, exec_lo, s22
	v_add_nc_u32_e32 v2, 0xffffff81, v2
	v_lshrrev_b32_e32 v45, 23, v44
	s_mov_b32 s8, exec_lo
	s_delay_alu instid0(VALU_DEP_2) | instskip(NEXT) | instid1(VALU_DEP_1)
	v_cndmask_b32_e64 v2, v2, 0xffffff82, vcc_lo
	v_add3_u32 v47, v72, v2, v45
	v_and_b32_e32 v2, 0xfffff, v46
	s_delay_alu instid0(VALU_DEP_2) | instskip(NEXT) | instid1(VALU_DEP_2)
	v_dual_mov_b32 v45, v65 :: v_dual_add_nc_u32 v46, 6, v47
	v_add_nc_u32_e32 v44, v2, v44
                                        ; implicit-def: $vgpr2
	s_delay_alu instid0(VALU_DEP_2)
	v_cmpx_ne_u32_e32 0, v46
	s_xor_b32 s8, exec_lo, s8
; %bb.545:                              ;   in Loop: Header=BB0_323 Depth=3
	s_delay_alu instid0(VALU_DEP_2) | instskip(SKIP_1) | instid1(VALU_DEP_1)
	v_cmp_lt_u64_e32 vcc_lo, 0xffffff, v[44:45]
	v_add_nc_u32_e32 v2, 7, v47
	v_cndmask_b32_e32 v2, v46, v2, vcc_lo
	v_cndmask_b32_e64 v46, 0, 1, vcc_lo
	s_delay_alu instid0(VALU_DEP_1)
	v_lshrrev_b64 v[44:45], v46, v[44:45]
; %bb.546:                              ;   in Loop: Header=BB0_323 Depth=3
	s_and_not1_saveexec_b32 s8, s8
; %bb.547:                              ;   in Loop: Header=BB0_323 Depth=3
	s_delay_alu instid0(VALU_DEP_1)
	v_bfe_u32 v2, v44, 23, 1
; %bb.548:                              ;   in Loop: Header=BB0_323 Depth=3
	s_or_b32 exec_lo, exec_lo, s8
	s_delay_alu instid0(VALU_DEP_2) | instskip(NEXT) | instid1(VALU_DEP_2)
	v_lshrrev_b64 v[44:45], 20, v[44:45]
	v_cmp_gt_i32_e32 vcc_lo, 16, v2
	v_min_i32_e32 v46, 15, v2
	v_cmp_eq_u32_e64 s8, 0, v2
	s_delay_alu instid0(VALU_DEP_2) | instskip(SKIP_1) | instid1(VALU_DEP_2)
	v_dual_cndmask_b32 v45, 0, v45 :: v_dual_lshlrev_b32 v46, 3, v46
	v_cndmask_b32_e32 v44, 7, v44, vcc_lo
	v_and_b32_e32 v46, 0xf8, v46
	s_delay_alu instid0(VALU_DEP_2) | instskip(NEXT) | instid1(VALU_DEP_2)
	v_cmp_eq_u64_e32 vcc_lo, 0, v[44:45]
	v_and_or_b32 v2, v44, 7, v46
	s_and_b32 s8, s8, vcc_lo
	s_delay_alu instid0(VALU_DEP_1) | instid1(SALU_CYCLE_1)
	v_cndmask_b32_e64 v2, v2, 0, s8
	s_delay_alu instid0(VALU_DEP_1)
	v_or_b32_e32 v2, v2, v5
.LBB0_549:                              ;   in Loop: Header=BB0_323 Depth=3
	s_or_b32 exec_lo, exec_lo, s21
                                        ; implicit-def: $vgpr5
.LBB0_550:                              ;   in Loop: Header=BB0_323 Depth=3
	s_and_not1_saveexec_b32 s8, s20
; %bb.551:                              ;   in Loop: Header=BB0_323 Depth=3
	v_or_b32_e32 v2, 0x7e, v5
; %bb.552:                              ;   in Loop: Header=BB0_323 Depth=3
	s_or_b32 exec_lo, exec_lo, s8
                                        ; implicit-def: $vgpr5
.LBB0_553:                              ;   in Loop: Header=BB0_323 Depth=3
	s_and_not1_saveexec_b32 s8, s19
; %bb.554:                              ;   in Loop: Header=BB0_323 Depth=3
	v_or_b32_e32 v2, 0x7f, v5
; %bb.555:                              ;   in Loop: Header=BB0_323 Depth=3
	s_or_b32 exec_lo, exec_lo, s8
	v_lshrrev_b16 v44, 8, v16
	v_dual_mov_b32 v5, 0 :: v_dual_mov_b32 v46, 0
	s_mov_b32 s8, exec_lo
	s_delay_alu instid0(VALU_DEP_2)
	v_cmpx_ne_u16_e32 0, v44
	s_cbranch_execz .LBB0_563
; %bb.556:                              ;   in Loop: Header=BB0_323 Depth=3
	v_bfrev_b32_e32 v46, 1
	s_mov_b32 s19, exec_lo
	v_cmpx_ne_u16_e32 0x80, v44
	s_cbranch_execz .LBB0_562
; %bb.557:                              ;   in Loop: Header=BB0_323 Depth=3
	v_and_b32_e32 v44, 0xffff, v44
	v_mov_b32_e32 v46, 0x7f800001
	s_mov_b32 s20, exec_lo
	s_delay_alu instid0(VALU_DEP_2) | instskip(NEXT) | instid1(VALU_DEP_1)
	v_and_b32_e32 v47, 0x7f, v44
	v_cmpx_ne_u32_e32 0x7f, v47
	s_cbranch_execz .LBB0_561
; %bb.558:                              ;   in Loop: Header=BB0_323 Depth=3
	v_dual_mov_b32 v45, v65 :: v_dual_bitop2_b32 v44, 7, v44 bitop3:0x40
	v_lshrrev_b32_e32 v46, 3, v47
	s_mov_b32 s21, exec_lo
	v_cmpx_gt_u32_e32 8, v47
; %bb.559:                              ;   in Loop: Header=BB0_323 Depth=3
	s_delay_alu instid0(VALU_DEP_3) | instskip(NEXT) | instid1(VALU_DEP_1)
	v_clz_i32_u32_e32 v46, v44
	v_min_u32_e32 v46, 32, v46
	s_delay_alu instid0(VALU_DEP_1) | instskip(NEXT) | instid1(VALU_DEP_1)
	v_subrev_nc_u32_e32 v47, 28, v46
	v_lshlrev_b64_e32 v[44:45], v47, v[44:45]
	s_delay_alu instid0(VALU_DEP_1)
	v_dual_sub_nc_u32 v46, 29, v46 :: v_dual_bitop2_b32 v44, 7, v44 bitop3:0x40
; %bb.560:                              ;   in Loop: Header=BB0_323 Depth=3
	s_or_b32 exec_lo, exec_lo, s21
	v_lshlrev_b32_e32 v45, 16, v16
	s_delay_alu instid0(VALU_DEP_2) | instskip(NEXT) | instid1(VALU_DEP_3)
	v_lshlrev_b32_e32 v44, 20, v44
	v_lshl_add_u32 v46, v46, 23, 0x3c000000
	s_delay_alu instid0(VALU_DEP_3) | instskip(NEXT) | instid1(VALU_DEP_1)
	v_and_b32_e32 v45, 0x80000000, v45
	v_or3_b32 v46, v44, v45, v46
.LBB0_561:                              ;   in Loop: Header=BB0_323 Depth=3
	s_or_b32 exec_lo, exec_lo, s20
.LBB0_562:                              ;   in Loop: Header=BB0_323 Depth=3
	s_delay_alu instid0(SALU_CYCLE_1)
	s_or_b32 exec_lo, exec_lo, s19
.LBB0_563:                              ;   in Loop: Header=BB0_323 Depth=3
	s_delay_alu instid0(SALU_CYCLE_1) | instskip(SKIP_2) | instid1(VALU_DEP_1)
	s_or_b32 exec_lo, exec_lo, s8
	v_lshrrev_b16 v44, 8, v17
	s_mov_b32 s8, exec_lo
	v_cmpx_ne_u16_e32 0, v44
	s_cbranch_execz .LBB0_571
; %bb.564:                              ;   in Loop: Header=BB0_323 Depth=3
	v_bfrev_b32_e32 v5, 1
	s_mov_b32 s19, exec_lo
	v_cmpx_ne_u16_e32 0x80, v44
	s_cbranch_execz .LBB0_570
; %bb.565:                              ;   in Loop: Header=BB0_323 Depth=3
	v_and_b32_e32 v44, 0xffff, v44
	v_mov_b32_e32 v5, 0x7f800001
	s_mov_b32 s20, exec_lo
	s_delay_alu instid0(VALU_DEP_2) | instskip(NEXT) | instid1(VALU_DEP_1)
	v_and_b32_e32 v47, 0x7f, v44
	v_cmpx_ne_u32_e32 0x7f, v47
	s_cbranch_execz .LBB0_569
; %bb.566:                              ;   in Loop: Header=BB0_323 Depth=3
	v_dual_mov_b32 v45, v65 :: v_dual_bitop2_b32 v44, 7, v44 bitop3:0x40
	v_lshrrev_b32_e32 v5, 3, v47
	s_mov_b32 s21, exec_lo
	v_cmpx_gt_u32_e32 8, v47
; %bb.567:                              ;   in Loop: Header=BB0_323 Depth=3
	s_delay_alu instid0(VALU_DEP_3) | instskip(NEXT) | instid1(VALU_DEP_1)
	v_clz_i32_u32_e32 v5, v44
	v_min_u32_e32 v5, 32, v5
	s_delay_alu instid0(VALU_DEP_1) | instskip(NEXT) | instid1(VALU_DEP_1)
	v_subrev_nc_u32_e32 v47, 28, v5
	v_lshlrev_b64_e32 v[44:45], v47, v[44:45]
	s_delay_alu instid0(VALU_DEP_1)
	v_dual_sub_nc_u32 v5, 29, v5 :: v_dual_bitop2_b32 v44, 7, v44 bitop3:0x40
; %bb.568:                              ;   in Loop: Header=BB0_323 Depth=3
	s_or_b32 exec_lo, exec_lo, s21
	s_delay_alu instid0(VALU_DEP_1) | instskip(NEXT) | instid1(VALU_DEP_2)
	v_dual_lshlrev_b32 v17, 16, v17 :: v_dual_lshlrev_b32 v44, 20, v44
	v_lshl_add_u32 v5, v5, 23, 0x3c000000
	s_delay_alu instid0(VALU_DEP_2) | instskip(NEXT) | instid1(VALU_DEP_1)
	v_and_b32_e32 v17, 0x80000000, v17
	v_or3_b32 v5, v44, v17, v5
.LBB0_569:                              ;   in Loop: Header=BB0_323 Depth=3
	s_or_b32 exec_lo, exec_lo, s20
.LBB0_570:                              ;   in Loop: Header=BB0_323 Depth=3
	s_delay_alu instid0(SALU_CYCLE_1)
	s_or_b32 exec_lo, exec_lo, s19
.LBB0_571:                              ;   in Loop: Header=BB0_323 Depth=3
	s_delay_alu instid0(SALU_CYCLE_1) | instskip(NEXT) | instid1(VALU_DEP_1)
	s_or_b32 exec_lo, exec_lo, s8
	v_dual_add_f32 v17, v46, v5 :: v_dual_mov_b32 v45, v65
                                        ; implicit-def: $vgpr72
	s_mov_b32 s8, exec_lo
	s_delay_alu instid0(VALU_DEP_1) | instskip(SKIP_1) | instid1(VALU_DEP_2)
	v_and_b32_e32 v44, 0x7f800000, v17
	v_lshrrev_b32_e32 v5, 24, v17
	v_cmpx_ne_u64_e32 0x7f800000, v[44:45]
	s_xor_b32 s19, exec_lo, s8
	s_cbranch_execz .LBB0_585
; %bb.572:                              ;   in Loop: Header=BB0_323 Depth=3
	v_and_b32_e32 v44, 0x7fffffff, v17
	v_mov_b32_e32 v45, v65
	v_and_b32_e32 v5, 0x80, v5
                                        ; implicit-def: $vgpr72
	s_mov_b32 s8, exec_lo
	s_delay_alu instid0(VALU_DEP_2)
	v_cmpx_gt_u64_e32 0x43e00001, v[44:45]
	s_xor_b32 s20, exec_lo, s8
	s_cbranch_execz .LBB0_582
; %bb.573:                              ;   in Loop: Header=BB0_323 Depth=3
	v_mov_b32_e32 v72, 0
	s_mov_b32 s21, exec_lo
	v_cmpx_ne_u32_e32 0, v17
	s_cbranch_execz .LBB0_581
; %bb.574:                              ;   in Loop: Header=BB0_323 Depth=3
	v_bfe_u32 v72, v17, 23, 8
	v_and_b32_e32 v17, 0x7fffff, v17
	s_mov_b32 s22, exec_lo
	s_delay_alu instid0(VALU_DEP_2) | instskip(SKIP_1) | instid1(VALU_DEP_3)
	v_dual_mov_b32 v47, v65 :: v_dual_sub_nc_u32 v44, 0x79, v72
	v_cmp_gt_u32_e32 vcc_lo, 0x7a, v72
	v_or_b32_e32 v46, 0x800000, v17
	s_delay_alu instid0(VALU_DEP_3) | instskip(SKIP_1) | instid1(VALU_DEP_3)
	v_cndmask_b32_e32 v44, 0, v44, vcc_lo
	v_cmp_eq_u32_e32 vcc_lo, 0, v72
	v_cndmask_b32_e32 v46, v46, v17, vcc_lo
	s_delay_alu instid0(VALU_DEP_3) | instskip(NEXT) | instid1(VALU_DEP_1)
	v_cndmask_b32_e64 v76, v44, 0x78, vcc_lo
	v_dual_add_nc_u32 v44, 20, v76 :: v_dual_add_nc_u32 v77, 19, v76
	s_delay_alu instid0(VALU_DEP_1) | instskip(NEXT) | instid1(VALU_DEP_2)
	v_lshlrev_b64_e64 v[44:45], v44, -1
	v_lshlrev_b64_e64 v[78:79], v77, 1
	s_delay_alu instid0(VALU_DEP_2) | instskip(NEXT) | instid1(VALU_DEP_3)
	v_bfi_b32 v89, v45, 0, 0
	v_bfi_b32 v88, v44, 0, v46
	v_lshrrev_b64 v[44:45], v76, v[46:47]
	s_delay_alu instid0(VALU_DEP_1) | instskip(NEXT) | instid1(VALU_DEP_3)
	v_mov_b64_e32 v[46:47], v[44:45]
	v_cmpx_eq_u64_e64 v[88:89], v[78:79]
; %bb.575:                              ;   in Loop: Header=BB0_323 Depth=3
	v_bfe_u32 v46, v44, 20, 1
	v_mov_b32_e32 v47, v65
	s_delay_alu instid0(VALU_DEP_1) | instskip(NEXT) | instid1(VALU_DEP_1)
	v_add_nc_u64_e32 v[46:47], v[44:45], v[46:47]
	v_add_nc_u64_e32 v[46:47], -1, v[46:47]
; %bb.576:                              ;   in Loop: Header=BB0_323 Depth=3
	s_or_b32 exec_lo, exec_lo, s22
	v_add_nc_u32_e32 v17, 0xffffff81, v72
	v_lshrrev_b32_e32 v45, 23, v44
	s_mov_b32 s8, exec_lo
	s_delay_alu instid0(VALU_DEP_2) | instskip(NEXT) | instid1(VALU_DEP_1)
	v_cndmask_b32_e64 v17, v17, 0xffffff82, vcc_lo
	v_add3_u32 v47, v76, v17, v45
	v_and_b32_e32 v17, 0xfffff, v46
	s_delay_alu instid0(VALU_DEP_2) | instskip(NEXT) | instid1(VALU_DEP_2)
	v_dual_mov_b32 v45, v65 :: v_dual_add_nc_u32 v46, 6, v47
	v_add_nc_u32_e32 v44, v17, v44
                                        ; implicit-def: $vgpr17
	s_delay_alu instid0(VALU_DEP_2)
	v_cmpx_ne_u32_e32 0, v46
	s_xor_b32 s8, exec_lo, s8
; %bb.577:                              ;   in Loop: Header=BB0_323 Depth=3
	s_delay_alu instid0(VALU_DEP_2) | instskip(SKIP_1) | instid1(VALU_DEP_1)
	v_cmp_lt_u64_e32 vcc_lo, 0xffffff, v[44:45]
	v_add_nc_u32_e32 v17, 7, v47
	v_cndmask_b32_e32 v17, v46, v17, vcc_lo
	v_cndmask_b32_e64 v46, 0, 1, vcc_lo
	s_delay_alu instid0(VALU_DEP_1)
	v_lshrrev_b64 v[44:45], v46, v[44:45]
; %bb.578:                              ;   in Loop: Header=BB0_323 Depth=3
	s_and_not1_saveexec_b32 s8, s8
; %bb.579:                              ;   in Loop: Header=BB0_323 Depth=3
	s_delay_alu instid0(VALU_DEP_1)
	v_bfe_u32 v17, v44, 23, 1
; %bb.580:                              ;   in Loop: Header=BB0_323 Depth=3
	s_or_b32 exec_lo, exec_lo, s8
	s_delay_alu instid0(VALU_DEP_2) | instskip(NEXT) | instid1(VALU_DEP_2)
	v_lshrrev_b64 v[44:45], 20, v[44:45]
	v_cmp_gt_i32_e32 vcc_lo, 16, v17
	v_min_i32_e32 v46, 15, v17
	v_cmp_eq_u32_e64 s8, 0, v17
	s_delay_alu instid0(VALU_DEP_2) | instskip(SKIP_1) | instid1(VALU_DEP_2)
	v_dual_cndmask_b32 v44, 7, v44, vcc_lo :: v_dual_lshlrev_b32 v46, 3, v46
	v_cndmask_b32_e32 v45, 0, v45, vcc_lo
	v_and_b32_e32 v46, 0xf8, v46
	s_delay_alu instid0(VALU_DEP_2) | instskip(NEXT) | instid1(VALU_DEP_2)
	v_cmp_eq_u64_e32 vcc_lo, 0, v[44:45]
	v_and_or_b32 v17, v44, 7, v46
	s_and_b32 s8, s8, vcc_lo
	s_delay_alu instid0(VALU_DEP_1) | instid1(SALU_CYCLE_1)
	v_cndmask_b32_e64 v17, v17, 0, s8
	s_delay_alu instid0(VALU_DEP_1)
	v_or_b32_e32 v72, v17, v5
.LBB0_581:                              ;   in Loop: Header=BB0_323 Depth=3
	s_or_b32 exec_lo, exec_lo, s21
                                        ; implicit-def: $vgpr5
.LBB0_582:                              ;   in Loop: Header=BB0_323 Depth=3
	s_and_not1_saveexec_b32 s8, s20
; %bb.583:                              ;   in Loop: Header=BB0_323 Depth=3
	v_or_b32_e32 v72, 0x7e, v5
; %bb.584:                              ;   in Loop: Header=BB0_323 Depth=3
	s_or_b32 exec_lo, exec_lo, s8
                                        ; implicit-def: $vgpr5
.LBB0_585:                              ;   in Loop: Header=BB0_323 Depth=3
	s_and_not1_saveexec_b32 s8, s19
; %bb.586:                              ;   in Loop: Header=BB0_323 Depth=3
	v_or_b32_e32 v72, 0x7f, v5
; %bb.587:                              ;   in Loop: Header=BB0_323 Depth=3
	s_or_b32 exec_lo, exec_lo, s8
	v_dual_mov_b32 v5, 0 :: v_dual_lshrrev_b32 v46, 16, v16
	v_mov_b32_e32 v17, 0
	s_mov_b32 s8, exec_lo
	s_delay_alu instid0(VALU_DEP_2) | instskip(NEXT) | instid1(VALU_DEP_1)
	v_and_b32_e32 v44, 0xff, v46
	v_cmpx_ne_u16_e32 0, v44
	s_cbranch_execz .LBB0_595
; %bb.588:                              ;   in Loop: Header=BB0_323 Depth=3
	v_bfrev_b32_e32 v17, 1
	s_mov_b32 s19, exec_lo
	v_cmpx_ne_u16_e32 0x80, v44
	s_cbranch_execz .LBB0_594
; %bb.589:                              ;   in Loop: Header=BB0_323 Depth=3
	v_bfe_u32 v47, v16, 16, 7
	v_mov_b32_e32 v17, 0x7f800001
	s_mov_b32 s20, exec_lo
	s_delay_alu instid0(VALU_DEP_2)
	v_cmpx_ne_u32_e32 0x7f, v47
	s_cbranch_execz .LBB0_593
; %bb.590:                              ;   in Loop: Header=BB0_323 Depth=3
	v_dual_mov_b32 v45, v65 :: v_dual_bitop2_b32 v44, 7, v46 bitop3:0x40
	v_lshrrev_b32_e32 v17, 3, v47
	s_mov_b32 s21, exec_lo
	v_cmpx_gt_u32_e32 8, v47
; %bb.591:                              ;   in Loop: Header=BB0_323 Depth=3
	s_delay_alu instid0(VALU_DEP_3) | instskip(NEXT) | instid1(VALU_DEP_1)
	v_clz_i32_u32_e32 v17, v44
	v_min_u32_e32 v17, 32, v17
	s_delay_alu instid0(VALU_DEP_1) | instskip(NEXT) | instid1(VALU_DEP_1)
	v_subrev_nc_u32_e32 v47, 28, v17
	v_lshlrev_b64_e32 v[44:45], v47, v[44:45]
	s_delay_alu instid0(VALU_DEP_1)
	v_dual_sub_nc_u32 v17, 29, v17 :: v_dual_bitop2_b32 v44, 7, v44 bitop3:0x40
; %bb.592:                              ;   in Loop: Header=BB0_323 Depth=3
	s_or_b32 exec_lo, exec_lo, s21
	s_delay_alu instid0(VALU_DEP_1) | instskip(NEXT) | instid1(VALU_DEP_2)
	v_dual_lshlrev_b32 v45, 24, v46 :: v_dual_lshlrev_b32 v44, 20, v44
	v_lshl_add_u32 v17, v17, 23, 0x3c000000
	s_delay_alu instid0(VALU_DEP_2) | instskip(NEXT) | instid1(VALU_DEP_1)
	v_and_b32_e32 v45, 0x80000000, v45
	v_or3_b32 v17, v44, v45, v17
.LBB0_593:                              ;   in Loop: Header=BB0_323 Depth=3
	s_or_b32 exec_lo, exec_lo, s20
.LBB0_594:                              ;   in Loop: Header=BB0_323 Depth=3
	s_delay_alu instid0(SALU_CYCLE_1)
	s_or_b32 exec_lo, exec_lo, s19
.LBB0_595:                              ;   in Loop: Header=BB0_323 Depth=3
	s_delay_alu instid0(SALU_CYCLE_1) | instskip(SKIP_2) | instid1(VALU_DEP_1)
	s_or_b32 exec_lo, exec_lo, s8
	v_lshrrev_b32_e32 v44, 16, v4
	s_mov_b32 s8, exec_lo
	v_and_b32_e32 v45, 0xff, v44
	s_delay_alu instid0(VALU_DEP_1)
	v_cmpx_ne_u16_e32 0, v45
	s_cbranch_execz .LBB0_603
; %bb.596:                              ;   in Loop: Header=BB0_323 Depth=3
	v_bfrev_b32_e32 v5, 1
	s_mov_b32 s19, exec_lo
	v_cmpx_ne_u16_e32 0x80, v45
	s_cbranch_execz .LBB0_602
; %bb.597:                              ;   in Loop: Header=BB0_323 Depth=3
	v_bfe_u32 v46, v4, 16, 7
	v_mov_b32_e32 v5, 0x7f800001
	s_mov_b32 s20, exec_lo
	s_delay_alu instid0(VALU_DEP_2)
	v_cmpx_ne_u32_e32 0x7f, v46
	s_cbranch_execz .LBB0_601
; %bb.598:                              ;   in Loop: Header=BB0_323 Depth=3
	v_dual_mov_b32 v45, v65 :: v_dual_bitop2_b32 v44, 7, v44 bitop3:0x40
	v_lshrrev_b32_e32 v5, 3, v46
	s_mov_b32 s21, exec_lo
	v_cmpx_gt_u32_e32 8, v46
; %bb.599:                              ;   in Loop: Header=BB0_323 Depth=3
	s_delay_alu instid0(VALU_DEP_3) | instskip(NEXT) | instid1(VALU_DEP_1)
	v_clz_i32_u32_e32 v5, v44
	v_min_u32_e32 v5, 32, v5
	s_delay_alu instid0(VALU_DEP_1) | instskip(NEXT) | instid1(VALU_DEP_1)
	v_subrev_nc_u32_e32 v46, 28, v5
	v_lshlrev_b64_e32 v[44:45], v46, v[44:45]
	s_delay_alu instid0(VALU_DEP_1)
	v_dual_sub_nc_u32 v5, 29, v5 :: v_dual_bitop2_b32 v44, 7, v44 bitop3:0x40
; %bb.600:                              ;   in Loop: Header=BB0_323 Depth=3
	s_or_b32 exec_lo, exec_lo, s21
	v_lshlrev_b32_e32 v45, 8, v4
	s_delay_alu instid0(VALU_DEP_2) | instskip(NEXT) | instid1(VALU_DEP_3)
	v_lshlrev_b32_e32 v44, 20, v44
	v_lshl_add_u32 v5, v5, 23, 0x3c000000
	s_delay_alu instid0(VALU_DEP_3) | instskip(NEXT) | instid1(VALU_DEP_1)
	v_and_b32_e32 v45, 0x80000000, v45
	v_or3_b32 v5, v44, v45, v5
.LBB0_601:                              ;   in Loop: Header=BB0_323 Depth=3
	s_or_b32 exec_lo, exec_lo, s20
.LBB0_602:                              ;   in Loop: Header=BB0_323 Depth=3
	s_delay_alu instid0(SALU_CYCLE_1)
	s_or_b32 exec_lo, exec_lo, s19
.LBB0_603:                              ;   in Loop: Header=BB0_323 Depth=3
	s_delay_alu instid0(SALU_CYCLE_1) | instskip(NEXT) | instid1(VALU_DEP_1)
	s_or_b32 exec_lo, exec_lo, s8
	v_add_f32_e32 v17, v17, v5
	v_mov_b32_e32 v45, v65
                                        ; implicit-def: $vgpr46
	s_mov_b32 s8, exec_lo
	s_delay_alu instid0(VALU_DEP_2) | instskip(SKIP_1) | instid1(VALU_DEP_2)
	v_and_b32_e32 v44, 0x7f800000, v17
	v_lshrrev_b32_e32 v5, 24, v17
	v_cmpx_ne_u64_e32 0x7f800000, v[44:45]
	s_xor_b32 s19, exec_lo, s8
	s_cbranch_execz .LBB0_617
; %bb.604:                              ;   in Loop: Header=BB0_323 Depth=3
	v_and_b32_e32 v44, 0x7fffffff, v17
	v_mov_b32_e32 v45, v65
	v_and_b32_e32 v5, 0x80, v5
                                        ; implicit-def: $vgpr46
	s_mov_b32 s8, exec_lo
	s_delay_alu instid0(VALU_DEP_2)
	v_cmpx_gt_u64_e32 0x43e00001, v[44:45]
	s_xor_b32 s20, exec_lo, s8
	s_cbranch_execz .LBB0_614
; %bb.605:                              ;   in Loop: Header=BB0_323 Depth=3
	v_mov_b32_e32 v46, 0
	s_mov_b32 s21, exec_lo
	v_cmpx_ne_u32_e32 0, v17
	s_cbranch_execz .LBB0_613
; %bb.606:                              ;   in Loop: Header=BB0_323 Depth=3
	v_bfe_u32 v76, v17, 23, 8
	v_and_b32_e32 v17, 0x7fffff, v17
	s_mov_b32 s22, exec_lo
	s_delay_alu instid0(VALU_DEP_2) | instskip(SKIP_1) | instid1(VALU_DEP_3)
	v_dual_mov_b32 v47, v65 :: v_dual_sub_nc_u32 v44, 0x79, v76
	v_cmp_gt_u32_e32 vcc_lo, 0x7a, v76
	v_or_b32_e32 v46, 0x800000, v17
	s_delay_alu instid0(VALU_DEP_3) | instskip(SKIP_1) | instid1(VALU_DEP_2)
	v_cndmask_b32_e32 v44, 0, v44, vcc_lo
	v_cmp_eq_u32_e32 vcc_lo, 0, v76
	v_cndmask_b32_e64 v77, v44, 0x78, vcc_lo
	s_delay_alu instid0(VALU_DEP_4) | instskip(NEXT) | instid1(VALU_DEP_2)
	v_cndmask_b32_e32 v46, v46, v17, vcc_lo
	v_dual_add_nc_u32 v44, 20, v77 :: v_dual_add_nc_u32 v78, 19, v77
	s_delay_alu instid0(VALU_DEP_1) | instskip(NEXT) | instid1(VALU_DEP_2)
	v_lshlrev_b64_e64 v[44:45], v44, -1
	v_lshlrev_b64_e64 v[78:79], v78, 1
	s_delay_alu instid0(VALU_DEP_2) | instskip(NEXT) | instid1(VALU_DEP_3)
	v_bfi_b32 v89, v45, 0, 0
	v_bfi_b32 v88, v44, 0, v46
	v_lshrrev_b64 v[44:45], v77, v[46:47]
	s_delay_alu instid0(VALU_DEP_1) | instskip(NEXT) | instid1(VALU_DEP_3)
	v_mov_b64_e32 v[46:47], v[44:45]
	v_cmpx_eq_u64_e64 v[88:89], v[78:79]
; %bb.607:                              ;   in Loop: Header=BB0_323 Depth=3
	v_bfe_u32 v46, v44, 20, 1
	v_mov_b32_e32 v47, v65
	s_delay_alu instid0(VALU_DEP_1) | instskip(NEXT) | instid1(VALU_DEP_1)
	v_add_nc_u64_e32 v[46:47], v[44:45], v[46:47]
	v_add_nc_u64_e32 v[46:47], -1, v[46:47]
; %bb.608:                              ;   in Loop: Header=BB0_323 Depth=3
	s_or_b32 exec_lo, exec_lo, s22
	v_add_nc_u32_e32 v17, 0xffffff81, v76
	v_lshrrev_b32_e32 v45, 23, v44
	s_mov_b32 s8, exec_lo
	s_delay_alu instid0(VALU_DEP_2) | instskip(NEXT) | instid1(VALU_DEP_1)
	v_cndmask_b32_e64 v17, v17, 0xffffff82, vcc_lo
	v_add3_u32 v47, v77, v17, v45
	v_and_b32_e32 v17, 0xfffff, v46
	s_delay_alu instid0(VALU_DEP_2) | instskip(NEXT) | instid1(VALU_DEP_2)
	v_dual_mov_b32 v45, v65 :: v_dual_add_nc_u32 v46, 6, v47
	v_add_nc_u32_e32 v44, v17, v44
                                        ; implicit-def: $vgpr17
	s_delay_alu instid0(VALU_DEP_2)
	v_cmpx_ne_u32_e32 0, v46
	s_xor_b32 s8, exec_lo, s8
; %bb.609:                              ;   in Loop: Header=BB0_323 Depth=3
	s_delay_alu instid0(VALU_DEP_2) | instskip(SKIP_1) | instid1(VALU_DEP_1)
	v_cmp_lt_u64_e32 vcc_lo, 0xffffff, v[44:45]
	v_add_nc_u32_e32 v17, 7, v47
	v_cndmask_b32_e32 v17, v46, v17, vcc_lo
	v_cndmask_b32_e64 v46, 0, 1, vcc_lo
	s_delay_alu instid0(VALU_DEP_1)
	v_lshrrev_b64 v[44:45], v46, v[44:45]
; %bb.610:                              ;   in Loop: Header=BB0_323 Depth=3
	s_and_not1_saveexec_b32 s8, s8
; %bb.611:                              ;   in Loop: Header=BB0_323 Depth=3
	s_delay_alu instid0(VALU_DEP_1)
	v_bfe_u32 v17, v44, 23, 1
; %bb.612:                              ;   in Loop: Header=BB0_323 Depth=3
	s_or_b32 exec_lo, exec_lo, s8
	s_delay_alu instid0(VALU_DEP_2) | instskip(NEXT) | instid1(VALU_DEP_2)
	v_lshrrev_b64 v[44:45], 20, v[44:45]
	v_cmp_gt_i32_e32 vcc_lo, 16, v17
	v_min_i32_e32 v46, 15, v17
	v_cmp_eq_u32_e64 s8, 0, v17
	s_delay_alu instid0(VALU_DEP_2) | instskip(SKIP_1) | instid1(VALU_DEP_2)
	v_dual_cndmask_b32 v44, 7, v44, vcc_lo :: v_dual_lshlrev_b32 v46, 3, v46
	v_cndmask_b32_e32 v45, 0, v45, vcc_lo
	v_and_b32_e32 v46, 0xf8, v46
	s_delay_alu instid0(VALU_DEP_2) | instskip(NEXT) | instid1(VALU_DEP_2)
	v_cmp_eq_u64_e32 vcc_lo, 0, v[44:45]
	v_and_or_b32 v17, v44, 7, v46
	s_and_b32 s8, s8, vcc_lo
	s_delay_alu instid0(VALU_DEP_1) | instid1(SALU_CYCLE_1)
	v_cndmask_b32_e64 v17, v17, 0, s8
	s_delay_alu instid0(VALU_DEP_1)
	v_or_b32_e32 v46, v17, v5
.LBB0_613:                              ;   in Loop: Header=BB0_323 Depth=3
	s_or_b32 exec_lo, exec_lo, s21
                                        ; implicit-def: $vgpr5
.LBB0_614:                              ;   in Loop: Header=BB0_323 Depth=3
	s_and_not1_saveexec_b32 s8, s20
; %bb.615:                              ;   in Loop: Header=BB0_323 Depth=3
	v_or_b32_e32 v46, 0x7e, v5
; %bb.616:                              ;   in Loop: Header=BB0_323 Depth=3
	s_or_b32 exec_lo, exec_lo, s8
                                        ; implicit-def: $vgpr5
.LBB0_617:                              ;   in Loop: Header=BB0_323 Depth=3
	s_and_not1_saveexec_b32 s8, s19
; %bb.618:                              ;   in Loop: Header=BB0_323 Depth=3
	v_or_b32_e32 v46, 0x7f, v5
; %bb.619:                              ;   in Loop: Header=BB0_323 Depth=3
	s_or_b32 exec_lo, exec_lo, s8
	v_dual_mov_b32 v5, 0 :: v_dual_mov_b32 v17, 0
	s_mov_b32 s8, exec_lo
	v_cmpx_lt_u32_e32 0xffffff, v16
	s_cbranch_execz .LBB0_627
; %bb.620:                              ;   in Loop: Header=BB0_323 Depth=3
	v_lshrrev_b32_e32 v44, 24, v16
	v_bfrev_b32_e32 v17, 1
	s_mov_b32 s19, exec_lo
	s_delay_alu instid0(VALU_DEP_2)
	v_cmpx_ne_u32_e32 0x80, v44
	s_cbranch_execz .LBB0_626
; %bb.621:                              ;   in Loop: Header=BB0_323 Depth=3
	v_bfe_u32 v47, v16, 24, 7
	v_mov_b32_e32 v17, 0x7f800001
	s_mov_b32 s20, exec_lo
	s_delay_alu instid0(VALU_DEP_2)
	v_cmpx_ne_u32_e32 0x7f, v47
	s_cbranch_execz .LBB0_625
; %bb.622:                              ;   in Loop: Header=BB0_323 Depth=3
	v_dual_mov_b32 v17, v65 :: v_dual_bitop2_b32 v16, 7, v44 bitop3:0x40
	v_lshrrev_b32_e32 v45, 3, v47
	s_mov_b32 s21, exec_lo
	v_cmpx_gt_u32_e32 8, v47
; %bb.623:                              ;   in Loop: Header=BB0_323 Depth=3
	s_delay_alu instid0(VALU_DEP_3) | instskip(NEXT) | instid1(VALU_DEP_1)
	v_clz_i32_u32_e32 v45, v16
	v_min_u32_e32 v45, 32, v45
	s_delay_alu instid0(VALU_DEP_1) | instskip(NEXT) | instid1(VALU_DEP_1)
	v_subrev_nc_u32_e32 v47, 28, v45
	v_lshlrev_b64_e32 v[16:17], v47, v[16:17]
	s_delay_alu instid0(VALU_DEP_1)
	v_dual_sub_nc_u32 v45, 29, v45 :: v_dual_bitop2_b32 v16, 7, v16 bitop3:0x40
; %bb.624:                              ;   in Loop: Header=BB0_323 Depth=3
	s_or_b32 exec_lo, exec_lo, s21
	v_lshlrev_b32_e32 v17, 24, v44
	s_delay_alu instid0(VALU_DEP_2) | instskip(NEXT) | instid1(VALU_DEP_3)
	v_lshlrev_b32_e32 v16, 20, v16
	v_lshl_add_u32 v44, v45, 23, 0x3c000000
	s_delay_alu instid0(VALU_DEP_3) | instskip(NEXT) | instid1(VALU_DEP_1)
	v_and_b32_e32 v17, 0x80000000, v17
	v_or3_b32 v17, v16, v17, v44
.LBB0_625:                              ;   in Loop: Header=BB0_323 Depth=3
	s_or_b32 exec_lo, exec_lo, s20
.LBB0_626:                              ;   in Loop: Header=BB0_323 Depth=3
	s_delay_alu instid0(SALU_CYCLE_1)
	s_or_b32 exec_lo, exec_lo, s19
.LBB0_627:                              ;   in Loop: Header=BB0_323 Depth=3
	s_delay_alu instid0(SALU_CYCLE_1) | instskip(NEXT) | instid1(SALU_CYCLE_1)
	s_or_b32 exec_lo, exec_lo, s8
	s_mov_b32 s8, exec_lo
	v_cmpx_lt_u32_e32 0xffffff, v4
	s_cbranch_execz .LBB0_635
; %bb.628:                              ;   in Loop: Header=BB0_323 Depth=3
	v_lshrrev_b32_e32 v16, 24, v4
	v_bfrev_b32_e32 v5, 1
	s_mov_b32 s19, exec_lo
	s_delay_alu instid0(VALU_DEP_2)
	v_cmpx_ne_u32_e32 0x80, v16
	s_cbranch_execz .LBB0_634
; %bb.629:                              ;   in Loop: Header=BB0_323 Depth=3
	v_bfe_u32 v45, v4, 24, 7
	v_mov_b32_e32 v5, 0x7f800001
	s_mov_b32 s20, exec_lo
	s_delay_alu instid0(VALU_DEP_2)
	v_cmpx_ne_u32_e32 0x7f, v45
	s_cbranch_execz .LBB0_633
; %bb.630:                              ;   in Loop: Header=BB0_323 Depth=3
	v_dual_mov_b32 v5, v65 :: v_dual_bitop2_b32 v4, 7, v16 bitop3:0x40
	v_lshrrev_b32_e32 v44, 3, v45
	s_mov_b32 s21, exec_lo
	v_cmpx_gt_u32_e32 8, v45
; %bb.631:                              ;   in Loop: Header=BB0_323 Depth=3
	s_delay_alu instid0(VALU_DEP_3) | instskip(NEXT) | instid1(VALU_DEP_1)
	v_clz_i32_u32_e32 v44, v4
	v_min_u32_e32 v44, 32, v44
	s_delay_alu instid0(VALU_DEP_1) | instskip(SKIP_1) | instid1(VALU_DEP_2)
	v_subrev_nc_u32_e32 v45, 28, v44
	v_sub_nc_u32_e32 v44, 29, v44
	v_lshlrev_b64_e32 v[4:5], v45, v[4:5]
	s_delay_alu instid0(VALU_DEP_1)
	v_and_b32_e32 v4, 7, v4
; %bb.632:                              ;   in Loop: Header=BB0_323 Depth=3
	s_or_b32 exec_lo, exec_lo, s21
	v_lshlrev_b32_e32 v5, 24, v16
	s_delay_alu instid0(VALU_DEP_2) | instskip(SKIP_1) | instid1(VALU_DEP_3)
	v_lshlrev_b32_e32 v4, 20, v4
	v_lshl_add_u32 v16, v44, 23, 0x3c000000
	v_and_b32_e32 v5, 0x80000000, v5
	s_delay_alu instid0(VALU_DEP_1)
	v_or3_b32 v5, v4, v5, v16
.LBB0_633:                              ;   in Loop: Header=BB0_323 Depth=3
	s_or_b32 exec_lo, exec_lo, s20
.LBB0_634:                              ;   in Loop: Header=BB0_323 Depth=3
	s_delay_alu instid0(SALU_CYCLE_1)
	s_or_b32 exec_lo, exec_lo, s19
.LBB0_635:                              ;   in Loop: Header=BB0_323 Depth=3
	s_delay_alu instid0(SALU_CYCLE_1) | instskip(NEXT) | instid1(VALU_DEP_1)
	s_or_b32 exec_lo, exec_lo, s8
	v_add_f32_e32 v4, v17, v5
	v_mov_b32_e32 v17, v65
                                        ; implicit-def: $vgpr47
	s_mov_b32 s8, exec_lo
	s_delay_alu instid0(VALU_DEP_2) | instskip(SKIP_1) | instid1(VALU_DEP_2)
	v_and_b32_e32 v16, 0x7f800000, v4
	v_lshrrev_b32_e32 v5, 24, v4
	v_cmpx_ne_u64_e32 0x7f800000, v[16:17]
	s_xor_b32 s19, exec_lo, s8
	s_cbranch_execz .LBB0_649
; %bb.636:                              ;   in Loop: Header=BB0_323 Depth=3
	v_and_b32_e32 v16, 0x7fffffff, v4
	v_mov_b32_e32 v17, v65
	v_and_b32_e32 v44, 0x80, v5
                                        ; implicit-def: $vgpr47
	s_mov_b32 s8, exec_lo
	s_delay_alu instid0(VALU_DEP_2)
	v_cmpx_gt_u64_e32 0x43e00001, v[16:17]
	s_xor_b32 s20, exec_lo, s8
	s_cbranch_execz .LBB0_646
; %bb.637:                              ;   in Loop: Header=BB0_323 Depth=3
	v_mov_b32_e32 v47, 0
	s_mov_b32 s21, exec_lo
	v_cmpx_ne_u32_e32 0, v4
	s_cbranch_execz .LBB0_645
; %bb.638:                              ;   in Loop: Header=BB0_323 Depth=3
	v_bfe_u32 v45, v4, 23, 8
	v_and_b32_e32 v16, 0x7fffff, v4
	s_mov_b32 s22, exec_lo
	s_delay_alu instid0(VALU_DEP_2) | instskip(NEXT) | instid1(VALU_DEP_2)
	v_cmp_gt_u32_e32 vcc_lo, 0x7a, v45
	v_or_b32_e32 v17, 0x800000, v16
	v_sub_nc_u32_e32 v5, 0x79, v45
	s_delay_alu instid0(VALU_DEP_1) | instskip(SKIP_1) | instid1(VALU_DEP_2)
	v_cndmask_b32_e32 v5, 0, v5, vcc_lo
	v_cmp_eq_u32_e32 vcc_lo, 0, v45
	v_cndmask_b32_e64 v47, v5, 0x78, vcc_lo
	v_cndmask_b32_e32 v16, v17, v16, vcc_lo
	s_delay_alu instid0(VALU_DEP_2) | instskip(SKIP_1) | instid1(VALU_DEP_2)
	v_dual_mov_b32 v17, v65 :: v_dual_add_nc_u32 v76, 19, v47
	v_add_nc_u32_e32 v4, 20, v47
	v_lshlrev_b64_e64 v[76:77], v76, 1
	s_delay_alu instid0(VALU_DEP_2) | instskip(NEXT) | instid1(VALU_DEP_1)
	v_lshlrev_b64_e64 v[4:5], v4, -1
	v_bfi_b32 v79, v5, 0, 0
	s_delay_alu instid0(VALU_DEP_2) | instskip(SKIP_1) | instid1(VALU_DEP_1)
	v_bfi_b32 v78, v4, 0, v16
	v_lshrrev_b64 v[4:5], v47, v[16:17]
	v_mov_b64_e32 v[16:17], v[4:5]
	s_delay_alu instid0(VALU_DEP_3)
	v_cmpx_eq_u64_e64 v[78:79], v[76:77]
; %bb.639:                              ;   in Loop: Header=BB0_323 Depth=3
	v_bfe_u32 v16, v4, 20, 1
	v_mov_b32_e32 v17, v65
	s_delay_alu instid0(VALU_DEP_1) | instskip(NEXT) | instid1(VALU_DEP_1)
	v_add_nc_u64_e32 v[16:17], v[4:5], v[16:17]
	v_add_nc_u64_e32 v[16:17], -1, v[16:17]
; %bb.640:                              ;   in Loop: Header=BB0_323 Depth=3
	s_or_b32 exec_lo, exec_lo, s22
	v_add_nc_u32_e32 v5, 0xffffff81, v45
	v_lshrrev_b32_e32 v17, 23, v4
	s_mov_b32 s8, exec_lo
	s_delay_alu instid0(VALU_DEP_2) | instskip(NEXT) | instid1(VALU_DEP_1)
	v_cndmask_b32_e64 v5, v5, 0xffffff82, vcc_lo
	v_add3_u32 v17, v47, v5, v17
	v_and_b32_e32 v5, 0xfffff, v16
                                        ; implicit-def: $vgpr16
	s_delay_alu instid0(VALU_DEP_1) | instskip(SKIP_1) | instid1(VALU_DEP_2)
	v_dual_add_nc_u32 v45, 6, v17 :: v_dual_add_nc_u32 v4, v5, v4
	v_mov_b32_e32 v5, v65
	v_cmpx_ne_u32_e32 0, v45
	s_xor_b32 s8, exec_lo, s8
; %bb.641:                              ;   in Loop: Header=BB0_323 Depth=3
	s_delay_alu instid0(VALU_DEP_2) | instskip(SKIP_2) | instid1(VALU_DEP_2)
	v_cmp_lt_u64_e32 vcc_lo, 0xffffff, v[4:5]
	v_add_nc_u32_e32 v16, 7, v17
	v_cndmask_b32_e64 v17, 0, 1, vcc_lo
	v_cndmask_b32_e32 v16, v45, v16, vcc_lo
	s_delay_alu instid0(VALU_DEP_2)
	v_lshrrev_b64 v[4:5], v17, v[4:5]
; %bb.642:                              ;   in Loop: Header=BB0_323 Depth=3
	s_and_not1_saveexec_b32 s8, s8
; %bb.643:                              ;   in Loop: Header=BB0_323 Depth=3
	s_delay_alu instid0(VALU_DEP_1)
	v_bfe_u32 v16, v4, 23, 1
; %bb.644:                              ;   in Loop: Header=BB0_323 Depth=3
	s_or_b32 exec_lo, exec_lo, s8
	s_delay_alu instid0(VALU_DEP_2) | instskip(NEXT) | instid1(VALU_DEP_2)
	v_lshrrev_b64 v[4:5], 20, v[4:5]
	v_cmp_gt_i32_e32 vcc_lo, 16, v16
	v_min_i32_e32 v17, 15, v16
	v_cmp_eq_u32_e64 s8, 0, v16
	s_delay_alu instid0(VALU_DEP_4) | instskip(NEXT) | instid1(VALU_DEP_3)
	v_cndmask_b32_e32 v5, 0, v5, vcc_lo
	v_dual_cndmask_b32 v4, 7, v4 :: v_dual_lshlrev_b32 v17, 3, v17
	s_delay_alu instid0(VALU_DEP_1) | instskip(NEXT) | instid1(VALU_DEP_2)
	v_and_b32_e32 v17, 0xf8, v17
	v_cmp_eq_u64_e32 vcc_lo, 0, v[4:5]
	s_delay_alu instid0(VALU_DEP_2)
	v_and_or_b32 v4, v4, 7, v17
	s_and_b32 s8, s8, vcc_lo
	s_delay_alu instid0(VALU_DEP_1) | instid1(SALU_CYCLE_1)
	v_cndmask_b32_e64 v4, v4, 0, s8
	s_delay_alu instid0(VALU_DEP_1)
	v_or_b32_e32 v47, v4, v44
.LBB0_645:                              ;   in Loop: Header=BB0_323 Depth=3
	s_or_b32 exec_lo, exec_lo, s21
                                        ; implicit-def: $vgpr44
.LBB0_646:                              ;   in Loop: Header=BB0_323 Depth=3
	s_and_not1_saveexec_b32 s8, s20
; %bb.647:                              ;   in Loop: Header=BB0_323 Depth=3
	v_or_b32_e32 v47, 0x7e, v44
; %bb.648:                              ;   in Loop: Header=BB0_323 Depth=3
	s_or_b32 exec_lo, exec_lo, s8
                                        ; implicit-def: $vgpr5
.LBB0_649:                              ;   in Loop: Header=BB0_323 Depth=3
	s_and_not1_saveexec_b32 s8, s19
; %bb.650:                              ;   in Loop: Header=BB0_323 Depth=3
	v_or_b32_e32 v47, 0x7f, v5
; %bb.651:                              ;   in Loop: Header=BB0_323 Depth=3
	s_or_b32 exec_lo, exec_lo, s8
	v_and_b32_e32 v4, 0xff, v18
	v_dual_mov_b32 v16, 0 :: v_dual_mov_b32 v17, 0
	s_mov_b32 s8, exec_lo
	s_delay_alu instid0(VALU_DEP_2)
	v_cmpx_ne_u16_e32 0, v4
	s_cbranch_execz .LBB0_657
; %bb.652:                              ;   in Loop: Header=BB0_323 Depth=3
	v_bfrev_b32_e32 v17, 1
	s_mov_b32 s19, exec_lo
	v_cmpx_ne_u16_e32 0x80, v4
	s_cbranch_execz .LBB0_656
; %bb.653:                              ;   in Loop: Header=BB0_323 Depth=3
	v_and_b32_e32 v4, 0x7f, v18
	v_mov_b32_e32 v17, 0x7f800001
	s_mov_b32 s20, exec_lo
	s_delay_alu instid0(VALU_DEP_2)
	v_cmpx_ne_u32_e32 0x7f, v4
	s_cbranch_execz .LBB0_655
; %bb.654:                              ;   in Loop: Header=BB0_323 Depth=3
	v_dual_lshrrev_b32 v17, 3, v4 :: v_dual_bitop2_b32 v5, 7, v18 bitop3:0x40
	v_cmp_gt_u32_e32 vcc_lo, 8, v4
	s_delay_alu instid0(VALU_DEP_2) | instskip(NEXT) | instid1(VALU_DEP_1)
	v_clz_i32_u32_e32 v5, v5
	v_min_u32_e32 v5, 32, v5
	s_delay_alu instid0(VALU_DEP_1) | instskip(NEXT) | instid1(VALU_DEP_1)
	v_subrev_nc_u32_e32 v44, 28, v5
	v_dual_cndmask_b32 v4, 0, v44 :: v_dual_sub_nc_u32 v5, 29, v5
	s_delay_alu instid0(VALU_DEP_1) | instskip(NEXT) | instid1(VALU_DEP_2)
	v_cndmask_b32_e32 v17, v17, v5, vcc_lo
	v_lshlrev_b64_e32 v[4:5], v4, v[18:19]
	v_lshlrev_b32_e32 v5, 24, v18
	s_delay_alu instid0(VALU_DEP_3) | instskip(NEXT) | instid1(VALU_DEP_2)
	v_lshl_add_u32 v17, v17, 23, 0x3c000000
	v_and_b32_e32 v5, 0x80000000, v5
	s_delay_alu instid0(VALU_DEP_4) | instskip(NEXT) | instid1(VALU_DEP_1)
	v_lshlrev_b32_e32 v4, 20, v4
	v_and_b32_e32 v4, 0x700000, v4
	s_delay_alu instid0(VALU_DEP_1)
	v_or3_b32 v17, v4, v5, v17
.LBB0_655:                              ;   in Loop: Header=BB0_323 Depth=3
	s_or_b32 exec_lo, exec_lo, s20
.LBB0_656:                              ;   in Loop: Header=BB0_323 Depth=3
	s_delay_alu instid0(SALU_CYCLE_1)
	s_or_b32 exec_lo, exec_lo, s19
.LBB0_657:                              ;   in Loop: Header=BB0_323 Depth=3
	s_delay_alu instid0(SALU_CYCLE_1) | instskip(SKIP_4) | instid1(VALU_DEP_2)
	s_or_b32 exec_lo, exec_lo, s8
	v_dual_lshlrev_b32 v4, 24, v75 :: v_dual_lshlrev_b32 v19, 16, v74
	v_lshl_or_b32 v73, v73, 8, v63
	v_mov_b32_e32 v5, v65
	s_mov_b32 s8, exec_lo
	v_or3_b32 v4, v19, v4, v73
	v_cmpx_ne_u32_e32 0, v63
	s_cbranch_execz .LBB0_663
; %bb.658:                              ;   in Loop: Header=BB0_323 Depth=3
	v_bfrev_b32_e32 v16, 1
	s_mov_b32 s19, exec_lo
	v_cmpx_ne_u32_e32 0x80, v63
	s_cbranch_execz .LBB0_662
; %bb.659:                              ;   in Loop: Header=BB0_323 Depth=3
	v_and_b32_e32 v19, 0x7f, v63
	v_mov_b32_e32 v16, 0x7f800001
	s_mov_b32 s20, exec_lo
	s_delay_alu instid0(VALU_DEP_2)
	v_cmpx_ne_u32_e32 0x7f, v19
	s_cbranch_execz .LBB0_661
; %bb.660:                              ;   in Loop: Header=BB0_323 Depth=3
	v_cmp_gt_u32_e32 vcc_lo, 8, v19
	v_and_b32_e32 v16, 7, v63
	s_delay_alu instid0(VALU_DEP_1) | instskip(NEXT) | instid1(VALU_DEP_1)
	v_clz_i32_u32_e32 v16, v16
	v_min_u32_e32 v16, 32, v16
	v_lshrrev_b32_e32 v44, 3, v19
	s_delay_alu instid0(VALU_DEP_2) | instskip(NEXT) | instid1(VALU_DEP_1)
	v_subrev_nc_u32_e32 v45, 28, v16
	v_dual_cndmask_b32 v19, 0, v45 :: v_dual_sub_nc_u32 v16, 29, v16
	s_delay_alu instid0(VALU_DEP_1) | instskip(NEXT) | instid1(VALU_DEP_2)
	v_cndmask_b32_e32 v16, v44, v16, vcc_lo
	v_lshlrev_b64_e32 v[44:45], v19, v[4:5]
	v_lshlrev_b32_e32 v5, 24, v4
	s_delay_alu instid0(VALU_DEP_3) | instskip(NEXT) | instid1(VALU_DEP_2)
	v_lshl_add_u32 v16, v16, 23, 0x3c000000
	v_and_b32_e32 v5, 0x80000000, v5
	s_delay_alu instid0(VALU_DEP_4) | instskip(NEXT) | instid1(VALU_DEP_1)
	v_lshlrev_b32_e32 v19, 20, v44
	v_and_b32_e32 v19, 0x700000, v19
	s_delay_alu instid0(VALU_DEP_1)
	v_or3_b32 v16, v19, v5, v16
.LBB0_661:                              ;   in Loop: Header=BB0_323 Depth=3
	s_or_b32 exec_lo, exec_lo, s20
.LBB0_662:                              ;   in Loop: Header=BB0_323 Depth=3
	s_delay_alu instid0(SALU_CYCLE_1)
	s_or_b32 exec_lo, exec_lo, s19
.LBB0_663:                              ;   in Loop: Header=BB0_323 Depth=3
	s_delay_alu instid0(SALU_CYCLE_1) | instskip(NEXT) | instid1(VALU_DEP_1)
	s_or_b32 exec_lo, exec_lo, s8
	v_add_f32_e32 v16, v17, v16
	v_mov_b32_e32 v45, v65
                                        ; implicit-def: $vgpr19
	s_mov_b32 s8, exec_lo
	s_delay_alu instid0(VALU_DEP_2) | instskip(SKIP_1) | instid1(VALU_DEP_2)
	v_and_b32_e32 v44, 0x7f800000, v16
	v_lshrrev_b32_e32 v5, 24, v16
	v_cmpx_ne_u64_e32 0x7f800000, v[44:45]
	s_xor_b32 s19, exec_lo, s8
	s_cbranch_execz .LBB0_677
; %bb.664:                              ;   in Loop: Header=BB0_323 Depth=3
	v_and_b32_e32 v44, 0x7fffffff, v16
	v_mov_b32_e32 v45, v65
	v_and_b32_e32 v5, 0x80, v5
                                        ; implicit-def: $vgpr19
	s_mov_b32 s8, exec_lo
	s_delay_alu instid0(VALU_DEP_2)
	v_cmpx_gt_u64_e32 0x43e00001, v[44:45]
	s_xor_b32 s20, exec_lo, s8
	s_cbranch_execz .LBB0_674
; %bb.665:                              ;   in Loop: Header=BB0_323 Depth=3
	v_mov_b32_e32 v19, 0
	s_mov_b32 s21, exec_lo
	v_cmpx_ne_u32_e32 0, v16
	s_cbranch_execz .LBB0_673
; %bb.666:                              ;   in Loop: Header=BB0_323 Depth=3
	v_bfe_u32 v19, v16, 23, 8
	v_and_b32_e32 v44, 0x7fffff, v16
	s_mov_b32 s22, exec_lo
	s_delay_alu instid0(VALU_DEP_2) | instskip(NEXT) | instid1(VALU_DEP_2)
	v_cmp_gt_u32_e32 vcc_lo, 0x7a, v19
	v_or_b32_e32 v45, 0x800000, v44
	v_sub_nc_u32_e32 v17, 0x79, v19
	s_delay_alu instid0(VALU_DEP_1) | instskip(SKIP_1) | instid1(VALU_DEP_2)
	v_cndmask_b32_e32 v17, 0, v17, vcc_lo
	v_cmp_eq_u32_e32 vcc_lo, 0, v19
	v_cndmask_b32_e64 v63, v17, 0x78, vcc_lo
	v_cndmask_b32_e32 v44, v45, v44, vcc_lo
	s_delay_alu instid0(VALU_DEP_2) | instskip(SKIP_1) | instid1(VALU_DEP_2)
	v_dual_mov_b32 v45, v65 :: v_dual_add_nc_u32 v74, 19, v63
	v_add_nc_u32_e32 v16, 20, v63
	v_lshlrev_b64_e64 v[74:75], v74, 1
	s_delay_alu instid0(VALU_DEP_2) | instskip(NEXT) | instid1(VALU_DEP_1)
	v_lshlrev_b64_e64 v[16:17], v16, -1
	v_bfi_b32 v77, v17, 0, 0
	s_delay_alu instid0(VALU_DEP_2) | instskip(SKIP_1) | instid1(VALU_DEP_1)
	v_bfi_b32 v76, v16, 0, v44
	v_lshrrev_b64 v[16:17], v63, v[44:45]
	v_mov_b64_e32 v[44:45], v[16:17]
	s_delay_alu instid0(VALU_DEP_3)
	v_cmpx_eq_u64_e64 v[76:77], v[74:75]
; %bb.667:                              ;   in Loop: Header=BB0_323 Depth=3
	v_bfe_u32 v44, v16, 20, 1
	v_mov_b32_e32 v45, v65
	s_delay_alu instid0(VALU_DEP_1) | instskip(NEXT) | instid1(VALU_DEP_1)
	v_add_nc_u64_e32 v[44:45], v[16:17], v[44:45]
	v_add_nc_u64_e32 v[44:45], -1, v[44:45]
; %bb.668:                              ;   in Loop: Header=BB0_323 Depth=3
	s_or_b32 exec_lo, exec_lo, s22
	v_add_nc_u32_e32 v17, 0xffffff81, v19
	v_lshrrev_b32_e32 v19, 23, v16
	s_mov_b32 s8, exec_lo
	s_delay_alu instid0(VALU_DEP_2) | instskip(NEXT) | instid1(VALU_DEP_1)
	v_cndmask_b32_e64 v17, v17, 0xffffff82, vcc_lo
	v_add3_u32 v45, v63, v17, v19
	v_and_b32_e32 v17, 0xfffff, v44
                                        ; implicit-def: $vgpr19
	s_delay_alu instid0(VALU_DEP_1) | instskip(SKIP_1) | instid1(VALU_DEP_2)
	v_dual_add_nc_u32 v44, 6, v45 :: v_dual_add_nc_u32 v16, v17, v16
	v_mov_b32_e32 v17, v65
	v_cmpx_ne_u32_e32 0, v44
	s_xor_b32 s8, exec_lo, s8
; %bb.669:                              ;   in Loop: Header=BB0_323 Depth=3
	s_delay_alu instid0(VALU_DEP_2) | instskip(SKIP_1) | instid1(VALU_DEP_1)
	v_cmp_lt_u64_e32 vcc_lo, 0xffffff, v[16:17]
	v_add_nc_u32_e32 v19, 7, v45
	v_cndmask_b32_e32 v19, v44, v19, vcc_lo
	v_cndmask_b32_e64 v44, 0, 1, vcc_lo
	s_delay_alu instid0(VALU_DEP_1)
	v_lshrrev_b64 v[16:17], v44, v[16:17]
; %bb.670:                              ;   in Loop: Header=BB0_323 Depth=3
	s_and_not1_saveexec_b32 s8, s8
; %bb.671:                              ;   in Loop: Header=BB0_323 Depth=3
	s_delay_alu instid0(VALU_DEP_1)
	v_bfe_u32 v19, v16, 23, 1
; %bb.672:                              ;   in Loop: Header=BB0_323 Depth=3
	s_or_b32 exec_lo, exec_lo, s8
	s_delay_alu instid0(VALU_DEP_2) | instskip(NEXT) | instid1(VALU_DEP_2)
	v_lshrrev_b64 v[16:17], 20, v[16:17]
	v_cmp_gt_i32_e32 vcc_lo, 16, v19
	v_min_i32_e32 v44, 15, v19
	v_cmp_eq_u32_e64 s8, 0, v19
	s_delay_alu instid0(VALU_DEP_2) | instskip(SKIP_1) | instid1(VALU_DEP_2)
	v_dual_cndmask_b32 v17, 0, v17 :: v_dual_lshlrev_b32 v44, 3, v44
	v_cndmask_b32_e32 v16, 7, v16, vcc_lo
	v_and_b32_e32 v44, 0xf8, v44
	s_delay_alu instid0(VALU_DEP_2) | instskip(NEXT) | instid1(VALU_DEP_2)
	v_cmp_eq_u64_e32 vcc_lo, 0, v[16:17]
	v_and_or_b32 v16, v16, 7, v44
	s_and_b32 s8, s8, vcc_lo
	s_delay_alu instid0(VALU_DEP_1) | instid1(SALU_CYCLE_1)
	v_cndmask_b32_e64 v16, v16, 0, s8
	s_delay_alu instid0(VALU_DEP_1)
	v_or_b32_e32 v19, v16, v5
.LBB0_673:                              ;   in Loop: Header=BB0_323 Depth=3
	s_or_b32 exec_lo, exec_lo, s21
                                        ; implicit-def: $vgpr5
.LBB0_674:                              ;   in Loop: Header=BB0_323 Depth=3
	s_and_not1_saveexec_b32 s8, s20
; %bb.675:                              ;   in Loop: Header=BB0_323 Depth=3
	v_or_b32_e32 v19, 0x7e, v5
; %bb.676:                              ;   in Loop: Header=BB0_323 Depth=3
	s_or_b32 exec_lo, exec_lo, s8
                                        ; implicit-def: $vgpr5
.LBB0_677:                              ;   in Loop: Header=BB0_323 Depth=3
	s_and_not1_saveexec_b32 s8, s19
; %bb.678:                              ;   in Loop: Header=BB0_323 Depth=3
	v_or_b32_e32 v19, 0x7f, v5
; %bb.679:                              ;   in Loop: Header=BB0_323 Depth=3
	s_or_b32 exec_lo, exec_lo, s8
	v_lshrrev_b16 v16, 8, v18
	v_dual_mov_b32 v5, 0 :: v_dual_mov_b32 v44, 0
	s_mov_b32 s8, exec_lo
	s_delay_alu instid0(VALU_DEP_2)
	v_cmpx_ne_u16_e32 0, v16
	s_cbranch_execz .LBB0_687
; %bb.680:                              ;   in Loop: Header=BB0_323 Depth=3
	v_bfrev_b32_e32 v44, 1
	s_mov_b32 s19, exec_lo
	v_cmpx_ne_u16_e32 0x80, v16
	s_cbranch_execz .LBB0_686
; %bb.681:                              ;   in Loop: Header=BB0_323 Depth=3
	v_and_b32_e32 v16, 0xffff, v16
	v_mov_b32_e32 v44, 0x7f800001
	s_mov_b32 s20, exec_lo
	s_delay_alu instid0(VALU_DEP_2) | instskip(NEXT) | instid1(VALU_DEP_1)
	v_and_b32_e32 v45, 0x7f, v16
	v_cmpx_ne_u32_e32 0x7f, v45
	s_cbranch_execz .LBB0_685
; %bb.682:                              ;   in Loop: Header=BB0_323 Depth=3
	v_dual_mov_b32 v17, v65 :: v_dual_bitop2_b32 v16, 7, v16 bitop3:0x40
	v_lshrrev_b32_e32 v44, 3, v45
	s_mov_b32 s21, exec_lo
	v_cmpx_gt_u32_e32 8, v45
; %bb.683:                              ;   in Loop: Header=BB0_323 Depth=3
	s_delay_alu instid0(VALU_DEP_3) | instskip(NEXT) | instid1(VALU_DEP_1)
	v_clz_i32_u32_e32 v44, v16
	v_min_u32_e32 v44, 32, v44
	s_delay_alu instid0(VALU_DEP_1) | instskip(SKIP_1) | instid1(VALU_DEP_2)
	v_subrev_nc_u32_e32 v45, 28, v44
	v_sub_nc_u32_e32 v44, 29, v44
	v_lshlrev_b64_e32 v[16:17], v45, v[16:17]
	s_delay_alu instid0(VALU_DEP_1)
	v_and_b32_e32 v16, 7, v16
; %bb.684:                              ;   in Loop: Header=BB0_323 Depth=3
	s_or_b32 exec_lo, exec_lo, s21
	s_delay_alu instid0(VALU_DEP_1) | instskip(SKIP_1) | instid1(VALU_DEP_2)
	v_dual_lshlrev_b32 v17, 16, v18 :: v_dual_lshlrev_b32 v16, 20, v16
	v_lshl_add_u32 v44, v44, 23, 0x3c000000
	v_and_b32_e32 v17, 0x80000000, v17
	s_delay_alu instid0(VALU_DEP_1)
	v_or3_b32 v44, v16, v17, v44
.LBB0_685:                              ;   in Loop: Header=BB0_323 Depth=3
	s_or_b32 exec_lo, exec_lo, s20
.LBB0_686:                              ;   in Loop: Header=BB0_323 Depth=3
	s_delay_alu instid0(SALU_CYCLE_1)
	s_or_b32 exec_lo, exec_lo, s19
.LBB0_687:                              ;   in Loop: Header=BB0_323 Depth=3
	s_delay_alu instid0(SALU_CYCLE_1) | instskip(SKIP_2) | instid1(VALU_DEP_1)
	s_or_b32 exec_lo, exec_lo, s8
	v_lshrrev_b16 v16, 8, v73
	s_mov_b32 s8, exec_lo
	v_cmpx_ne_u16_e32 0, v16
	s_cbranch_execz .LBB0_695
; %bb.688:                              ;   in Loop: Header=BB0_323 Depth=3
	v_bfrev_b32_e32 v5, 1
	s_mov_b32 s19, exec_lo
	v_cmpx_ne_u16_e32 0x80, v16
	s_cbranch_execz .LBB0_694
; %bb.689:                              ;   in Loop: Header=BB0_323 Depth=3
	v_and_b32_e32 v16, 0xffff, v16
	v_mov_b32_e32 v5, 0x7f800001
	s_mov_b32 s20, exec_lo
	s_delay_alu instid0(VALU_DEP_2) | instskip(NEXT) | instid1(VALU_DEP_1)
	v_and_b32_e32 v45, 0x7f, v16
	v_cmpx_ne_u32_e32 0x7f, v45
	s_cbranch_execz .LBB0_693
; %bb.690:                              ;   in Loop: Header=BB0_323 Depth=3
	v_dual_mov_b32 v17, v65 :: v_dual_bitop2_b32 v16, 7, v16 bitop3:0x40
	v_lshrrev_b32_e32 v5, 3, v45
	s_mov_b32 s21, exec_lo
	v_cmpx_gt_u32_e32 8, v45
; %bb.691:                              ;   in Loop: Header=BB0_323 Depth=3
	s_delay_alu instid0(VALU_DEP_3) | instskip(NEXT) | instid1(VALU_DEP_1)
	v_clz_i32_u32_e32 v5, v16
	v_min_u32_e32 v5, 32, v5
	s_delay_alu instid0(VALU_DEP_1) | instskip(NEXT) | instid1(VALU_DEP_1)
	v_subrev_nc_u32_e32 v45, 28, v5
	v_lshlrev_b64_e32 v[16:17], v45, v[16:17]
	s_delay_alu instid0(VALU_DEP_1)
	v_dual_sub_nc_u32 v5, 29, v5 :: v_dual_bitop2_b32 v16, 7, v16 bitop3:0x40
; %bb.692:                              ;   in Loop: Header=BB0_323 Depth=3
	s_or_b32 exec_lo, exec_lo, s21
	s_delay_alu instid0(VALU_DEP_1) | instskip(NEXT) | instid1(VALU_DEP_2)
	v_dual_lshlrev_b32 v17, 16, v73 :: v_dual_lshlrev_b32 v16, 20, v16
	v_lshl_add_u32 v5, v5, 23, 0x3c000000
	s_delay_alu instid0(VALU_DEP_2) | instskip(NEXT) | instid1(VALU_DEP_1)
	v_and_b32_e32 v17, 0x80000000, v17
	v_or3_b32 v5, v16, v17, v5
.LBB0_693:                              ;   in Loop: Header=BB0_323 Depth=3
	s_or_b32 exec_lo, exec_lo, s20
.LBB0_694:                              ;   in Loop: Header=BB0_323 Depth=3
	s_delay_alu instid0(SALU_CYCLE_1)
	s_or_b32 exec_lo, exec_lo, s19
.LBB0_695:                              ;   in Loop: Header=BB0_323 Depth=3
	s_delay_alu instid0(SALU_CYCLE_1) | instskip(NEXT) | instid1(VALU_DEP_1)
	s_or_b32 exec_lo, exec_lo, s8
	v_dual_add_f32 v16, v44, v5 :: v_dual_mov_b32 v45, v65
                                        ; implicit-def: $vgpr63
	s_mov_b32 s8, exec_lo
	s_delay_alu instid0(VALU_DEP_1) | instskip(SKIP_1) | instid1(VALU_DEP_2)
	v_and_b32_e32 v44, 0x7f800000, v16
	v_lshrrev_b32_e32 v5, 24, v16
	v_cmpx_ne_u64_e32 0x7f800000, v[44:45]
	s_xor_b32 s19, exec_lo, s8
	s_cbranch_execz .LBB0_709
; %bb.696:                              ;   in Loop: Header=BB0_323 Depth=3
	v_and_b32_e32 v44, 0x7fffffff, v16
	v_mov_b32_e32 v45, v65
	v_and_b32_e32 v5, 0x80, v5
                                        ; implicit-def: $vgpr63
	s_mov_b32 s8, exec_lo
	s_delay_alu instid0(VALU_DEP_2)
	v_cmpx_gt_u64_e32 0x43e00001, v[44:45]
	s_xor_b32 s20, exec_lo, s8
	s_cbranch_execz .LBB0_706
; %bb.697:                              ;   in Loop: Header=BB0_323 Depth=3
	v_mov_b32_e32 v63, 0
	s_mov_b32 s21, exec_lo
	v_cmpx_ne_u32_e32 0, v16
	s_cbranch_execz .LBB0_705
; %bb.698:                              ;   in Loop: Header=BB0_323 Depth=3
	v_bfe_u32 v63, v16, 23, 8
	v_and_b32_e32 v44, 0x7fffff, v16
	s_mov_b32 s22, exec_lo
	s_delay_alu instid0(VALU_DEP_2) | instskip(NEXT) | instid1(VALU_DEP_2)
	v_cmp_gt_u32_e32 vcc_lo, 0x7a, v63
	v_or_b32_e32 v45, 0x800000, v44
	v_sub_nc_u32_e32 v17, 0x79, v63
	s_delay_alu instid0(VALU_DEP_1) | instskip(SKIP_1) | instid1(VALU_DEP_4)
	v_cndmask_b32_e32 v17, 0, v17, vcc_lo
	v_cmp_eq_u32_e32 vcc_lo, 0, v63
	v_cndmask_b32_e32 v44, v45, v44, vcc_lo
	v_mov_b32_e32 v45, v65
	s_delay_alu instid0(VALU_DEP_4) | instskip(NEXT) | instid1(VALU_DEP_1)
	v_cndmask_b32_e64 v73, v17, 0x78, vcc_lo
	v_dual_add_nc_u32 v16, 20, v73 :: v_dual_add_nc_u32 v74, 19, v73
	s_delay_alu instid0(VALU_DEP_1) | instskip(NEXT) | instid1(VALU_DEP_2)
	v_lshlrev_b64_e64 v[16:17], v16, -1
	v_lshlrev_b64_e64 v[74:75], v74, 1
	s_delay_alu instid0(VALU_DEP_2) | instskip(NEXT) | instid1(VALU_DEP_3)
	v_bfi_b32 v77, v17, 0, 0
	v_bfi_b32 v76, v16, 0, v44
	v_lshrrev_b64 v[16:17], v73, v[44:45]
	s_delay_alu instid0(VALU_DEP_1) | instskip(NEXT) | instid1(VALU_DEP_3)
	v_mov_b64_e32 v[44:45], v[16:17]
	v_cmpx_eq_u64_e64 v[76:77], v[74:75]
; %bb.699:                              ;   in Loop: Header=BB0_323 Depth=3
	v_bfe_u32 v44, v16, 20, 1
	v_mov_b32_e32 v45, v65
	s_delay_alu instid0(VALU_DEP_1) | instskip(NEXT) | instid1(VALU_DEP_1)
	v_add_nc_u64_e32 v[44:45], v[16:17], v[44:45]
	v_add_nc_u64_e32 v[44:45], -1, v[44:45]
; %bb.700:                              ;   in Loop: Header=BB0_323 Depth=3
	s_or_b32 exec_lo, exec_lo, s22
	v_add_nc_u32_e32 v17, 0xffffff81, v63
	v_lshrrev_b32_e32 v45, 23, v16
	s_mov_b32 s8, exec_lo
	s_delay_alu instid0(VALU_DEP_2) | instskip(NEXT) | instid1(VALU_DEP_1)
	v_cndmask_b32_e64 v17, v17, 0xffffff82, vcc_lo
	v_add3_u32 v45, v73, v17, v45
	v_and_b32_e32 v17, 0xfffff, v44
                                        ; implicit-def: $vgpr44
	s_delay_alu instid0(VALU_DEP_1) | instskip(SKIP_1) | instid1(VALU_DEP_2)
	v_dual_add_nc_u32 v63, 6, v45 :: v_dual_add_nc_u32 v16, v17, v16
	v_mov_b32_e32 v17, v65
	v_cmpx_ne_u32_e32 0, v63
	s_xor_b32 s8, exec_lo, s8
; %bb.701:                              ;   in Loop: Header=BB0_323 Depth=3
	s_delay_alu instid0(VALU_DEP_2) | instskip(SKIP_2) | instid1(VALU_DEP_2)
	v_cmp_lt_u64_e32 vcc_lo, 0xffffff, v[16:17]
	v_add_nc_u32_e32 v44, 7, v45
	v_cndmask_b32_e64 v45, 0, 1, vcc_lo
	v_cndmask_b32_e32 v44, v63, v44, vcc_lo
	s_delay_alu instid0(VALU_DEP_2)
	v_lshrrev_b64 v[16:17], v45, v[16:17]
; %bb.702:                              ;   in Loop: Header=BB0_323 Depth=3
	s_and_not1_saveexec_b32 s8, s8
; %bb.703:                              ;   in Loop: Header=BB0_323 Depth=3
	s_delay_alu instid0(VALU_DEP_1)
	v_bfe_u32 v44, v16, 23, 1
; %bb.704:                              ;   in Loop: Header=BB0_323 Depth=3
	s_or_b32 exec_lo, exec_lo, s8
	s_delay_alu instid0(VALU_DEP_2) | instskip(NEXT) | instid1(VALU_DEP_2)
	v_lshrrev_b64 v[16:17], 20, v[16:17]
	v_cmp_gt_i32_e32 vcc_lo, 16, v44
	v_min_i32_e32 v45, 15, v44
	v_cmp_eq_u32_e64 s8, 0, v44
	s_delay_alu instid0(VALU_DEP_4) | instskip(NEXT) | instid1(VALU_DEP_3)
	v_cndmask_b32_e32 v17, 0, v17, vcc_lo
	v_dual_cndmask_b32 v16, 7, v16 :: v_dual_lshlrev_b32 v45, 3, v45
	s_delay_alu instid0(VALU_DEP_1) | instskip(NEXT) | instid1(VALU_DEP_2)
	v_and_b32_e32 v45, 0xf8, v45
	v_cmp_eq_u64_e32 vcc_lo, 0, v[16:17]
	s_delay_alu instid0(VALU_DEP_2)
	v_and_or_b32 v16, v16, 7, v45
	s_and_b32 s8, s8, vcc_lo
	s_delay_alu instid0(VALU_DEP_1) | instid1(SALU_CYCLE_1)
	v_cndmask_b32_e64 v16, v16, 0, s8
	s_delay_alu instid0(VALU_DEP_1)
	v_or_b32_e32 v63, v16, v5
.LBB0_705:                              ;   in Loop: Header=BB0_323 Depth=3
	s_or_b32 exec_lo, exec_lo, s21
                                        ; implicit-def: $vgpr5
.LBB0_706:                              ;   in Loop: Header=BB0_323 Depth=3
	s_and_not1_saveexec_b32 s8, s20
; %bb.707:                              ;   in Loop: Header=BB0_323 Depth=3
	v_or_b32_e32 v63, 0x7e, v5
; %bb.708:                              ;   in Loop: Header=BB0_323 Depth=3
	s_or_b32 exec_lo, exec_lo, s8
                                        ; implicit-def: $vgpr5
.LBB0_709:                              ;   in Loop: Header=BB0_323 Depth=3
	s_and_not1_saveexec_b32 s8, s19
; %bb.710:                              ;   in Loop: Header=BB0_323 Depth=3
	v_or_b32_e32 v63, 0x7f, v5
; %bb.711:                              ;   in Loop: Header=BB0_323 Depth=3
	s_or_b32 exec_lo, exec_lo, s8
	v_dual_lshrrev_b32 v45, 16, v18 :: v_dual_mov_b32 v5, 0
	v_mov_b32_e32 v44, 0
	s_mov_b32 s8, exec_lo
	s_delay_alu instid0(VALU_DEP_2) | instskip(NEXT) | instid1(VALU_DEP_1)
	v_and_b32_e32 v16, 0xff, v45
	v_cmpx_ne_u16_e32 0, v16
	s_cbranch_execz .LBB0_719
; %bb.712:                              ;   in Loop: Header=BB0_323 Depth=3
	v_bfrev_b32_e32 v44, 1
	s_mov_b32 s19, exec_lo
	v_cmpx_ne_u16_e32 0x80, v16
	s_cbranch_execz .LBB0_718
; %bb.713:                              ;   in Loop: Header=BB0_323 Depth=3
	v_bfe_u32 v73, v18, 16, 7
	v_mov_b32_e32 v44, 0x7f800001
	s_mov_b32 s20, exec_lo
	s_delay_alu instid0(VALU_DEP_2)
	v_cmpx_ne_u32_e32 0x7f, v73
	s_cbranch_execz .LBB0_717
; %bb.714:                              ;   in Loop: Header=BB0_323 Depth=3
	v_dual_mov_b32 v17, v65 :: v_dual_bitop2_b32 v16, 7, v45 bitop3:0x40
	v_lshrrev_b32_e32 v44, 3, v73
	s_mov_b32 s21, exec_lo
	v_cmpx_gt_u32_e32 8, v73
; %bb.715:                              ;   in Loop: Header=BB0_323 Depth=3
	s_delay_alu instid0(VALU_DEP_3) | instskip(NEXT) | instid1(VALU_DEP_1)
	v_clz_i32_u32_e32 v44, v16
	v_min_u32_e32 v44, 32, v44
	s_delay_alu instid0(VALU_DEP_1) | instskip(SKIP_1) | instid1(VALU_DEP_2)
	v_subrev_nc_u32_e32 v73, 28, v44
	v_sub_nc_u32_e32 v44, 29, v44
	v_lshlrev_b64_e32 v[16:17], v73, v[16:17]
	s_delay_alu instid0(VALU_DEP_1)
	v_and_b32_e32 v16, 7, v16
; %bb.716:                              ;   in Loop: Header=BB0_323 Depth=3
	s_or_b32 exec_lo, exec_lo, s21
	s_delay_alu instid0(VALU_DEP_1) | instskip(SKIP_1) | instid1(VALU_DEP_2)
	v_dual_lshlrev_b32 v17, 24, v45 :: v_dual_lshlrev_b32 v16, 20, v16
	v_lshl_add_u32 v44, v44, 23, 0x3c000000
	v_and_b32_e32 v17, 0x80000000, v17
	s_delay_alu instid0(VALU_DEP_1)
	v_or3_b32 v44, v16, v17, v44
.LBB0_717:                              ;   in Loop: Header=BB0_323 Depth=3
	s_or_b32 exec_lo, exec_lo, s20
.LBB0_718:                              ;   in Loop: Header=BB0_323 Depth=3
	s_delay_alu instid0(SALU_CYCLE_1)
	s_or_b32 exec_lo, exec_lo, s19
.LBB0_719:                              ;   in Loop: Header=BB0_323 Depth=3
	s_delay_alu instid0(SALU_CYCLE_1) | instskip(SKIP_2) | instid1(VALU_DEP_1)
	s_or_b32 exec_lo, exec_lo, s8
	v_lshrrev_b32_e32 v16, 16, v4
	s_mov_b32 s8, exec_lo
	v_and_b32_e32 v17, 0xff, v16
	s_delay_alu instid0(VALU_DEP_1)
	v_cmpx_ne_u16_e32 0, v17
	s_cbranch_execz .LBB0_727
; %bb.720:                              ;   in Loop: Header=BB0_323 Depth=3
	v_bfrev_b32_e32 v5, 1
	s_mov_b32 s19, exec_lo
	v_cmpx_ne_u16_e32 0x80, v17
	s_cbranch_execz .LBB0_726
; %bb.721:                              ;   in Loop: Header=BB0_323 Depth=3
	v_bfe_u32 v45, v4, 16, 7
	v_mov_b32_e32 v5, 0x7f800001
	s_mov_b32 s20, exec_lo
	s_delay_alu instid0(VALU_DEP_2)
	v_cmpx_ne_u32_e32 0x7f, v45
	s_cbranch_execz .LBB0_725
; %bb.722:                              ;   in Loop: Header=BB0_323 Depth=3
	v_dual_mov_b32 v17, v65 :: v_dual_bitop2_b32 v16, 7, v16 bitop3:0x40
	v_lshrrev_b32_e32 v5, 3, v45
	s_mov_b32 s21, exec_lo
	v_cmpx_gt_u32_e32 8, v45
; %bb.723:                              ;   in Loop: Header=BB0_323 Depth=3
	s_delay_alu instid0(VALU_DEP_3) | instskip(NEXT) | instid1(VALU_DEP_1)
	v_clz_i32_u32_e32 v5, v16
	v_min_u32_e32 v5, 32, v5
	s_delay_alu instid0(VALU_DEP_1) | instskip(NEXT) | instid1(VALU_DEP_1)
	v_subrev_nc_u32_e32 v45, 28, v5
	v_lshlrev_b64_e32 v[16:17], v45, v[16:17]
	s_delay_alu instid0(VALU_DEP_1)
	v_dual_sub_nc_u32 v5, 29, v5 :: v_dual_bitop2_b32 v16, 7, v16 bitop3:0x40
; %bb.724:                              ;   in Loop: Header=BB0_323 Depth=3
	s_or_b32 exec_lo, exec_lo, s21
	v_lshlrev_b32_e32 v17, 8, v4
	s_delay_alu instid0(VALU_DEP_2) | instskip(NEXT) | instid1(VALU_DEP_3)
	v_lshlrev_b32_e32 v16, 20, v16
	v_lshl_add_u32 v5, v5, 23, 0x3c000000
	s_delay_alu instid0(VALU_DEP_3) | instskip(NEXT) | instid1(VALU_DEP_1)
	v_and_b32_e32 v17, 0x80000000, v17
	v_or3_b32 v5, v16, v17, v5
.LBB0_725:                              ;   in Loop: Header=BB0_323 Depth=3
	s_or_b32 exec_lo, exec_lo, s20
.LBB0_726:                              ;   in Loop: Header=BB0_323 Depth=3
	s_delay_alu instid0(SALU_CYCLE_1)
	s_or_b32 exec_lo, exec_lo, s19
.LBB0_727:                              ;   in Loop: Header=BB0_323 Depth=3
	s_delay_alu instid0(SALU_CYCLE_1) | instskip(NEXT) | instid1(VALU_DEP_1)
	s_or_b32 exec_lo, exec_lo, s8
	v_dual_add_f32 v16, v44, v5 :: v_dual_mov_b32 v45, v65
	s_delay_alu instid0(VALU_DEP_1) | instskip(SKIP_1) | instid1(VALU_DEP_2)
	v_and_b32_e32 v44, 0x7f800000, v16
	v_lshrrev_b32_e32 v5, 24, v16
	v_cmp_ne_u64_e32 vcc_lo, 0x7f800000, v[44:45]
                                        ; implicit-def: $vgpr44
	s_and_saveexec_b32 s8, vcc_lo
	s_delay_alu instid0(SALU_CYCLE_1)
	s_xor_b32 s19, exec_lo, s8
	s_cbranch_execz .LBB0_741
; %bb.728:                              ;   in Loop: Header=BB0_323 Depth=3
	v_and_b32_e32 v44, 0x7fffffff, v16
	v_mov_b32_e32 v45, v65
	v_and_b32_e32 v5, 0x80, v5
	s_delay_alu instid0(VALU_DEP_2) | instskip(SKIP_1) | instid1(SALU_CYCLE_1)
	v_cmp_gt_u64_e32 vcc_lo, 0x43e00001, v[44:45]
                                        ; implicit-def: $vgpr44
	s_and_saveexec_b32 s8, vcc_lo
	s_xor_b32 s20, exec_lo, s8
	s_cbranch_execz .LBB0_738
; %bb.729:                              ;   in Loop: Header=BB0_323 Depth=3
	v_mov_b32_e32 v44, 0
	s_mov_b32 s21, exec_lo
	v_cmpx_ne_u32_e32 0, v16
	s_cbranch_execz .LBB0_737
; %bb.730:                              ;   in Loop: Header=BB0_323 Depth=3
	v_bfe_u32 v73, v16, 23, 8
	v_and_b32_e32 v44, 0x7fffff, v16
	s_mov_b32 s22, exec_lo
	s_delay_alu instid0(VALU_DEP_2) | instskip(NEXT) | instid1(VALU_DEP_2)
	v_cmp_gt_u32_e32 vcc_lo, 0x7a, v73
	v_or_b32_e32 v45, 0x800000, v44
	v_sub_nc_u32_e32 v17, 0x79, v73
	s_delay_alu instid0(VALU_DEP_1) | instskip(SKIP_1) | instid1(VALU_DEP_2)
	v_cndmask_b32_e32 v17, 0, v17, vcc_lo
	v_cmp_eq_u32_e32 vcc_lo, 0, v73
	v_cndmask_b32_e64 v74, v17, 0x78, vcc_lo
	v_cndmask_b32_e32 v44, v45, v44, vcc_lo
	s_delay_alu instid0(VALU_DEP_2) | instskip(SKIP_1) | instid1(VALU_DEP_2)
	v_dual_mov_b32 v45, v65 :: v_dual_add_nc_u32 v75, 19, v74
	v_add_nc_u32_e32 v16, 20, v74
	v_lshlrev_b64_e64 v[76:77], v75, 1
	s_delay_alu instid0(VALU_DEP_2) | instskip(NEXT) | instid1(VALU_DEP_1)
	v_lshlrev_b64_e64 v[16:17], v16, -1
	v_bfi_b32 v79, v17, 0, 0
	s_delay_alu instid0(VALU_DEP_2) | instskip(SKIP_1) | instid1(VALU_DEP_1)
	v_bfi_b32 v78, v16, 0, v44
	v_lshrrev_b64 v[16:17], v74, v[44:45]
	v_mov_b64_e32 v[44:45], v[16:17]
	s_delay_alu instid0(VALU_DEP_3)
	v_cmpx_eq_u64_e64 v[78:79], v[76:77]
; %bb.731:                              ;   in Loop: Header=BB0_323 Depth=3
	v_bfe_u32 v44, v16, 20, 1
	v_mov_b32_e32 v45, v65
	s_delay_alu instid0(VALU_DEP_1) | instskip(NEXT) | instid1(VALU_DEP_1)
	v_add_nc_u64_e32 v[44:45], v[16:17], v[44:45]
	v_add_nc_u64_e32 v[44:45], -1, v[44:45]
; %bb.732:                              ;   in Loop: Header=BB0_323 Depth=3
	s_or_b32 exec_lo, exec_lo, s22
	v_add_nc_u32_e32 v17, 0xffffff81, v73
	v_lshrrev_b32_e32 v45, 23, v16
	s_mov_b32 s8, exec_lo
	s_delay_alu instid0(VALU_DEP_2) | instskip(NEXT) | instid1(VALU_DEP_1)
	v_cndmask_b32_e64 v17, v17, 0xffffff82, vcc_lo
	v_add3_u32 v45, v74, v17, v45
	v_and_b32_e32 v17, 0xfffff, v44
                                        ; implicit-def: $vgpr44
	s_delay_alu instid0(VALU_DEP_1) | instskip(SKIP_1) | instid1(VALU_DEP_2)
	v_dual_add_nc_u32 v73, 6, v45 :: v_dual_add_nc_u32 v16, v17, v16
	v_mov_b32_e32 v17, v65
	v_cmpx_ne_u32_e32 0, v73
	s_xor_b32 s8, exec_lo, s8
; %bb.733:                              ;   in Loop: Header=BB0_323 Depth=3
	s_delay_alu instid0(VALU_DEP_2) | instskip(SKIP_2) | instid1(VALU_DEP_2)
	v_cmp_lt_u64_e32 vcc_lo, 0xffffff, v[16:17]
	v_add_nc_u32_e32 v44, 7, v45
	v_cndmask_b32_e64 v45, 0, 1, vcc_lo
	v_cndmask_b32_e32 v44, v73, v44, vcc_lo
	s_delay_alu instid0(VALU_DEP_2)
	v_lshrrev_b64 v[16:17], v45, v[16:17]
; %bb.734:                              ;   in Loop: Header=BB0_323 Depth=3
	s_and_not1_saveexec_b32 s8, s8
; %bb.735:                              ;   in Loop: Header=BB0_323 Depth=3
	s_delay_alu instid0(VALU_DEP_1)
	v_bfe_u32 v44, v16, 23, 1
; %bb.736:                              ;   in Loop: Header=BB0_323 Depth=3
	s_or_b32 exec_lo, exec_lo, s8
	s_delay_alu instid0(VALU_DEP_2) | instskip(NEXT) | instid1(VALU_DEP_2)
	v_lshrrev_b64 v[16:17], 20, v[16:17]
	v_cmp_gt_i32_e32 vcc_lo, 16, v44
	v_min_i32_e32 v45, 15, v44
	v_cmp_eq_u32_e64 s8, 0, v44
	s_delay_alu instid0(VALU_DEP_4) | instskip(NEXT) | instid1(VALU_DEP_3)
	v_cndmask_b32_e32 v17, 0, v17, vcc_lo
	v_dual_cndmask_b32 v16, 7, v16 :: v_dual_lshlrev_b32 v45, 3, v45
	s_delay_alu instid0(VALU_DEP_1) | instskip(NEXT) | instid1(VALU_DEP_2)
	v_and_b32_e32 v45, 0xf8, v45
	v_cmp_eq_u64_e32 vcc_lo, 0, v[16:17]
	s_delay_alu instid0(VALU_DEP_2)
	v_and_or_b32 v16, v16, 7, v45
	s_and_b32 s8, s8, vcc_lo
	s_delay_alu instid0(VALU_DEP_1) | instid1(SALU_CYCLE_1)
	v_cndmask_b32_e64 v16, v16, 0, s8
	s_delay_alu instid0(VALU_DEP_1)
	v_or_b32_e32 v44, v16, v5
.LBB0_737:                              ;   in Loop: Header=BB0_323 Depth=3
	s_or_b32 exec_lo, exec_lo, s21
                                        ; implicit-def: $vgpr5
.LBB0_738:                              ;   in Loop: Header=BB0_323 Depth=3
	s_and_not1_saveexec_b32 s8, s20
; %bb.739:                              ;   in Loop: Header=BB0_323 Depth=3
	v_or_b32_e32 v44, 0x7e, v5
; %bb.740:                              ;   in Loop: Header=BB0_323 Depth=3
	s_or_b32 exec_lo, exec_lo, s8
                                        ; implicit-def: $vgpr5
.LBB0_741:                              ;   in Loop: Header=BB0_323 Depth=3
	s_and_not1_saveexec_b32 s8, s19
; %bb.742:                              ;   in Loop: Header=BB0_323 Depth=3
	v_or_b32_e32 v44, 0x7f, v5
; %bb.743:                              ;   in Loop: Header=BB0_323 Depth=3
	s_or_b32 exec_lo, exec_lo, s8
	v_and_b32_e32 v16, 0xff000000, v18
	v_dual_mov_b32 v17, v65 :: v_dual_mov_b32 v5, 0
	s_delay_alu instid0(VALU_DEP_1)
	v_cmp_ne_u64_e32 vcc_lo, 0, v[16:17]
	v_mov_b32_e32 v16, 0
	s_and_saveexec_b32 s8, vcc_lo
	s_cbranch_execz .LBB0_751
; %bb.744:                              ;   in Loop: Header=BB0_323 Depth=3
	v_lshrrev_b32_e32 v45, 24, v18
	v_bfrev_b32_e32 v16, 1
	s_mov_b32 s19, exec_lo
	s_delay_alu instid0(VALU_DEP_2)
	v_cmpx_ne_u32_e32 0x80, v45
	s_cbranch_execz .LBB0_750
; %bb.745:                              ;   in Loop: Header=BB0_323 Depth=3
	v_bfe_u32 v73, v18, 24, 7
	v_mov_b32_e32 v16, 0x7f800001
	s_mov_b32 s20, exec_lo
	s_delay_alu instid0(VALU_DEP_2)
	v_cmpx_ne_u32_e32 0x7f, v73
	s_cbranch_execz .LBB0_749
; %bb.746:                              ;   in Loop: Header=BB0_323 Depth=3
	v_dual_mov_b32 v17, v65 :: v_dual_bitop2_b32 v16, 7, v45 bitop3:0x40
	v_lshrrev_b32_e32 v18, 3, v73
	s_mov_b32 s21, exec_lo
	v_cmpx_gt_u32_e32 8, v73
; %bb.747:                              ;   in Loop: Header=BB0_323 Depth=3
	s_delay_alu instid0(VALU_DEP_3) | instskip(NEXT) | instid1(VALU_DEP_1)
	v_clz_i32_u32_e32 v18, v16
	v_min_u32_e32 v18, 32, v18
	s_delay_alu instid0(VALU_DEP_1) | instskip(NEXT) | instid1(VALU_DEP_1)
	v_subrev_nc_u32_e32 v73, 28, v18
	v_lshlrev_b64_e32 v[16:17], v73, v[16:17]
	s_delay_alu instid0(VALU_DEP_1)
	v_dual_sub_nc_u32 v18, 29, v18 :: v_dual_bitop2_b32 v16, 7, v16 bitop3:0x40
; %bb.748:                              ;   in Loop: Header=BB0_323 Depth=3
	s_or_b32 exec_lo, exec_lo, s21
	s_delay_alu instid0(VALU_DEP_1) | instskip(NEXT) | instid1(VALU_DEP_2)
	v_dual_lshlrev_b32 v17, 24, v45 :: v_dual_lshlrev_b32 v16, 20, v16
	v_lshl_add_u32 v18, v18, 23, 0x3c000000
	s_delay_alu instid0(VALU_DEP_2) | instskip(NEXT) | instid1(VALU_DEP_1)
	v_and_b32_e32 v17, 0x80000000, v17
	v_or3_b32 v16, v16, v17, v18
.LBB0_749:                              ;   in Loop: Header=BB0_323 Depth=3
	s_or_b32 exec_lo, exec_lo, s20
.LBB0_750:                              ;   in Loop: Header=BB0_323 Depth=3
	s_delay_alu instid0(SALU_CYCLE_1)
	s_or_b32 exec_lo, exec_lo, s19
.LBB0_751:                              ;   in Loop: Header=BB0_323 Depth=3
	s_delay_alu instid0(SALU_CYCLE_1) | instskip(NEXT) | instid1(SALU_CYCLE_1)
	s_or_b32 exec_lo, exec_lo, s8
	s_mov_b32 s8, exec_lo
	v_cmpx_lt_u32_e32 0xffffff, v4
	s_cbranch_execz .LBB0_759
; %bb.752:                              ;   in Loop: Header=BB0_323 Depth=3
	v_lshrrev_b32_e32 v17, 24, v4
	v_bfrev_b32_e32 v5, 1
	s_mov_b32 s19, exec_lo
	s_delay_alu instid0(VALU_DEP_2)
	v_cmpx_ne_u32_e32 0x80, v17
	s_cbranch_execz .LBB0_758
; %bb.753:                              ;   in Loop: Header=BB0_323 Depth=3
	v_bfe_u32 v45, v4, 24, 7
	v_mov_b32_e32 v5, 0x7f800001
	s_mov_b32 s20, exec_lo
	s_delay_alu instid0(VALU_DEP_2)
	v_cmpx_ne_u32_e32 0x7f, v45
	s_cbranch_execz .LBB0_757
; %bb.754:                              ;   in Loop: Header=BB0_323 Depth=3
	v_dual_mov_b32 v5, v65 :: v_dual_bitop2_b32 v4, 7, v17 bitop3:0x40
	v_lshrrev_b32_e32 v18, 3, v45
	s_mov_b32 s21, exec_lo
	v_cmpx_gt_u32_e32 8, v45
; %bb.755:                              ;   in Loop: Header=BB0_323 Depth=3
	s_delay_alu instid0(VALU_DEP_3) | instskip(NEXT) | instid1(VALU_DEP_1)
	v_clz_i32_u32_e32 v18, v4
	v_min_u32_e32 v18, 32, v18
	s_delay_alu instid0(VALU_DEP_1) | instskip(NEXT) | instid1(VALU_DEP_1)
	v_subrev_nc_u32_e32 v45, 28, v18
	v_lshlrev_b64_e32 v[4:5], v45, v[4:5]
	s_delay_alu instid0(VALU_DEP_1)
	v_dual_sub_nc_u32 v18, 29, v18 :: v_dual_bitop2_b32 v4, 7, v4 bitop3:0x40
; %bb.756:                              ;   in Loop: Header=BB0_323 Depth=3
	s_or_b32 exec_lo, exec_lo, s21
	s_delay_alu instid0(VALU_DEP_1) | instskip(NEXT) | instid1(VALU_DEP_2)
	v_dual_lshlrev_b32 v5, 24, v17 :: v_dual_lshlrev_b32 v4, 20, v4
	v_lshl_add_u32 v17, v18, 23, 0x3c000000
	s_delay_alu instid0(VALU_DEP_2) | instskip(NEXT) | instid1(VALU_DEP_1)
	v_and_b32_e32 v5, 0x80000000, v5
	v_or3_b32 v5, v4, v5, v17
.LBB0_757:                              ;   in Loop: Header=BB0_323 Depth=3
	s_or_b32 exec_lo, exec_lo, s20
.LBB0_758:                              ;   in Loop: Header=BB0_323 Depth=3
	s_delay_alu instid0(SALU_CYCLE_1)
	s_or_b32 exec_lo, exec_lo, s19
.LBB0_759:                              ;   in Loop: Header=BB0_323 Depth=3
	s_delay_alu instid0(SALU_CYCLE_1) | instskip(NEXT) | instid1(VALU_DEP_1)
	s_or_b32 exec_lo, exec_lo, s8
	v_dual_add_f32 v5, v16, v5 :: v_dual_mov_b32 v17, v65
                                        ; implicit-def: $vgpr4
	s_delay_alu instid0(VALU_DEP_1) | instskip(NEXT) | instid1(VALU_DEP_1)
	v_and_b32_e32 v16, 0x7f800000, v5
	v_cmp_ne_u64_e32 vcc_lo, 0x7f800000, v[16:17]
	v_lshrrev_b32_e32 v16, 24, v5
	s_and_saveexec_b32 s8, vcc_lo
	s_delay_alu instid0(SALU_CYCLE_1)
	s_xor_b32 s19, exec_lo, s8
	s_cbranch_execz .LBB0_773
; %bb.760:                              ;   in Loop: Header=BB0_323 Depth=3
	v_and_b32_e32 v74, 0x7fffffff, v5
	v_mov_b32_e32 v75, v65
	v_and_b32_e32 v18, 0x80, v16
                                        ; implicit-def: $vgpr4
	s_mov_b32 s8, exec_lo
	s_delay_alu instid0(VALU_DEP_2)
	v_cmpx_gt_u64_e32 0x43e00001, v[74:75]
	s_xor_b32 s20, exec_lo, s8
	s_cbranch_execz .LBB0_770
; %bb.761:                              ;   in Loop: Header=BB0_323 Depth=3
	v_mov_b32_e32 v4, 0
	s_mov_b32 s21, exec_lo
	v_cmpx_ne_u32_e32 0, v5
	s_cbranch_execz .LBB0_769
; %bb.762:                              ;   in Loop: Header=BB0_323 Depth=3
	v_bfe_u32 v45, v5, 23, 8
	v_and_b32_e32 v16, 0x7fffff, v5
	s_mov_b32 s22, exec_lo
	s_delay_alu instid0(VALU_DEP_2) | instskip(SKIP_1) | instid1(VALU_DEP_3)
	v_sub_nc_u32_e32 v4, 0x79, v45
	v_cmp_gt_u32_e32 vcc_lo, 0x7a, v45
	v_or_b32_e32 v17, 0x800000, v16
	s_delay_alu instid0(VALU_DEP_3) | instskip(SKIP_1) | instid1(VALU_DEP_2)
	v_cndmask_b32_e32 v4, 0, v4, vcc_lo
	v_cmp_eq_u32_e32 vcc_lo, 0, v45
	v_cndmask_b32_e64 v73, v4, 0x78, vcc_lo
	s_delay_alu instid0(VALU_DEP_4) | instskip(NEXT) | instid1(VALU_DEP_2)
	v_cndmask_b32_e32 v16, v17, v16, vcc_lo
	v_dual_mov_b32 v17, v65 :: v_dual_add_nc_u32 v4, 20, v73
	v_add_nc_u32_e32 v74, 19, v73
	s_delay_alu instid0(VALU_DEP_2) | instskip(NEXT) | instid1(VALU_DEP_2)
	v_lshlrev_b64_e64 v[4:5], v4, -1
	v_lshlrev_b64_e64 v[74:75], v74, 1
	s_delay_alu instid0(VALU_DEP_2) | instskip(NEXT) | instid1(VALU_DEP_3)
	v_bfi_b32 v77, v5, 0, 0
	v_bfi_b32 v76, v4, 0, v16
	v_lshrrev_b64 v[4:5], v73, v[16:17]
	s_delay_alu instid0(VALU_DEP_1) | instskip(NEXT) | instid1(VALU_DEP_3)
	v_mov_b64_e32 v[16:17], v[4:5]
	v_cmpx_eq_u64_e64 v[76:77], v[74:75]
; %bb.763:                              ;   in Loop: Header=BB0_323 Depth=3
	v_bfe_u32 v16, v4, 20, 1
	v_mov_b32_e32 v17, v65
	s_delay_alu instid0(VALU_DEP_1) | instskip(NEXT) | instid1(VALU_DEP_1)
	v_add_nc_u64_e32 v[16:17], v[4:5], v[16:17]
	v_add_nc_u64_e32 v[16:17], -1, v[16:17]
; %bb.764:                              ;   in Loop: Header=BB0_323 Depth=3
	s_or_b32 exec_lo, exec_lo, s22
	v_add_nc_u32_e32 v5, 0xffffff81, v45
	v_lshrrev_b32_e32 v17, 23, v4
	s_mov_b32 s8, exec_lo
	s_delay_alu instid0(VALU_DEP_2) | instskip(NEXT) | instid1(VALU_DEP_1)
	v_cndmask_b32_e64 v5, v5, 0xffffff82, vcc_lo
	v_add3_u32 v17, v73, v5, v17
	v_and_b32_e32 v5, 0xfffff, v16
                                        ; implicit-def: $vgpr16
	s_delay_alu instid0(VALU_DEP_1) | instskip(SKIP_1) | instid1(VALU_DEP_2)
	v_dual_add_nc_u32 v45, 6, v17 :: v_dual_add_nc_u32 v4, v5, v4
	v_mov_b32_e32 v5, v65
	v_cmpx_ne_u32_e32 0, v45
	s_xor_b32 s8, exec_lo, s8
; %bb.765:                              ;   in Loop: Header=BB0_323 Depth=3
	s_delay_alu instid0(VALU_DEP_2) | instskip(SKIP_2) | instid1(VALU_DEP_2)
	v_cmp_lt_u64_e32 vcc_lo, 0xffffff, v[4:5]
	v_add_nc_u32_e32 v16, 7, v17
	v_cndmask_b32_e64 v17, 0, 1, vcc_lo
	v_cndmask_b32_e32 v16, v45, v16, vcc_lo
	s_delay_alu instid0(VALU_DEP_2)
	v_lshrrev_b64 v[4:5], v17, v[4:5]
; %bb.766:                              ;   in Loop: Header=BB0_323 Depth=3
	s_and_not1_saveexec_b32 s8, s8
; %bb.767:                              ;   in Loop: Header=BB0_323 Depth=3
	s_delay_alu instid0(VALU_DEP_1)
	v_bfe_u32 v16, v4, 23, 1
; %bb.768:                              ;   in Loop: Header=BB0_323 Depth=3
	s_or_b32 exec_lo, exec_lo, s8
	s_delay_alu instid0(VALU_DEP_2) | instskip(NEXT) | instid1(VALU_DEP_2)
	v_lshrrev_b64 v[4:5], 20, v[4:5]
	v_cmp_gt_i32_e32 vcc_lo, 16, v16
	v_min_i32_e32 v17, 15, v16
	v_cmp_eq_u32_e64 s8, 0, v16
	s_delay_alu instid0(VALU_DEP_4) | instskip(NEXT) | instid1(VALU_DEP_3)
	v_cndmask_b32_e32 v5, 0, v5, vcc_lo
	v_dual_cndmask_b32 v4, 7, v4 :: v_dual_lshlrev_b32 v17, 3, v17
	s_delay_alu instid0(VALU_DEP_1) | instskip(NEXT) | instid1(VALU_DEP_2)
	v_and_b32_e32 v17, 0xf8, v17
	v_cmp_eq_u64_e32 vcc_lo, 0, v[4:5]
	s_delay_alu instid0(VALU_DEP_2)
	v_and_or_b32 v4, v4, 7, v17
	s_and_b32 s8, s8, vcc_lo
	s_delay_alu instid0(VALU_DEP_1) | instid1(SALU_CYCLE_1)
	v_cndmask_b32_e64 v4, v4, 0, s8
	s_delay_alu instid0(VALU_DEP_1)
	v_or_b32_e32 v4, v4, v18
.LBB0_769:                              ;   in Loop: Header=BB0_323 Depth=3
	s_or_b32 exec_lo, exec_lo, s21
                                        ; implicit-def: $vgpr18
.LBB0_770:                              ;   in Loop: Header=BB0_323 Depth=3
	s_and_not1_saveexec_b32 s8, s20
; %bb.771:                              ;   in Loop: Header=BB0_323 Depth=3
	v_or_b32_e32 v4, 0x7e, v18
; %bb.772:                              ;   in Loop: Header=BB0_323 Depth=3
	s_or_b32 exec_lo, exec_lo, s8
                                        ; implicit-def: $vgpr16
.LBB0_773:                              ;   in Loop: Header=BB0_323 Depth=3
	s_and_not1_saveexec_b32 s8, s19
	s_cbranch_execz .LBB0_322
; %bb.774:                              ;   in Loop: Header=BB0_323 Depth=3
	v_or_b32_e32 v4, 0x7f, v16
	s_branch .LBB0_322
.LBB0_775:                              ;   in Loop: Header=BB0_279 Depth=2
	s_or_b32 exec_lo, exec_lo, s18
	s_delay_alu instid0(SALU_CYCLE_1)
	s_or_b32 exec_lo, exec_lo, s17
	s_and_saveexec_b32 s8, s3
	s_cbranch_execz .LBB0_316
.LBB0_776:                              ;   in Loop: Header=BB0_279 Depth=2
	s_and_saveexec_b32 s17, s4
	s_delay_alu instid0(SALU_CYCLE_1)
	s_xor_b32 s17, exec_lo, s17
	s_cbranch_execz .LBB0_791
; %bb.777:                              ;   in Loop: Header=BB0_279 Depth=2
	s_and_saveexec_b32 s18, s5
	s_cbranch_execz .LBB0_790
; %bb.778:                              ;   in Loop: Header=BB0_279 Depth=2
	s_mov_b32 s20, exec_lo
	s_mov_b32 s19, exec_lo
	v_mbcnt_lo_u32_b32 v2, s20, 0
	global_wb scope:SCOPE_DEV
	s_wait_storecnt 0x0
	s_wait_loadcnt_dscnt 0x0
	global_inv scope:SCOPE_DEV
	v_cmpx_eq_u32_e32 0, v2
	s_cbranch_execz .LBB0_780
; %bb.779:                              ;   in Loop: Header=BB0_279 Depth=2
	s_bcnt1_i32_b32 s20, s20
	s_delay_alu instid0(SALU_CYCLE_1)
	v_dual_mov_b32 v5, v65 :: v_dual_mov_b32 v4, s20
	s_wait_loadcnt 0x0
	ds_add_u64 v0, v[4:5]
	s_trap 2
.LBB0_780:                              ;   in Loop: Header=BB0_279 Depth=2
	s_or_b32 exec_lo, exec_lo, s19
	s_trap 2
	ds_load_b64 v[4:5], v0
	s_wait_dscnt 0x0
	v_add_nc_u64_e32 v[52:53], v[52:53], v[82:83]
	s_mov_b32 s19, exec_lo
	s_delay_alu instid0(VALU_DEP_1)
	v_cmpx_lt_u64_e64 v[4:5], v[52:53]
	s_cbranch_execz .LBB0_789
; %bb.781:                              ;   in Loop: Header=BB0_279 Depth=2
	s_mov_b32 s20, 0
	s_mov_b32 s23, 0
                                        ; implicit-def: $sgpr21
                                        ; implicit-def: $sgpr22
	s_branch .LBB0_783
.LBB0_782:                              ;   in Loop: Header=BB0_783 Depth=3
	s_or_b32 exec_lo, exec_lo, s25
	s_delay_alu instid0(SALU_CYCLE_1) | instskip(NEXT) | instid1(SALU_CYCLE_1)
	s_and_b32 s24, exec_lo, s26
	s_or_b32 s20, s24, s20
	s_and_not1_b32 s21, s21, exec_lo
	s_and_b32 s24, s22, exec_lo
	s_delay_alu instid0(SALU_CYCLE_1)
	s_or_b32 s21, s21, s24
	s_and_not1_b32 exec_lo, exec_lo, s20
	s_cbranch_execz .LBB0_787
.LBB0_783:                              ;   Parent Loop BB0_42 Depth=1
                                        ;     Parent Loop BB0_279 Depth=2
                                        ; =>    This Inner Loop Header: Depth=3
	s_add_co_i32 s23, s23, 1
	s_delay_alu instid0(SALU_CYCLE_1) | instskip(SKIP_1) | instid1(SALU_CYCLE_1)
	s_cmp_lg_u32 s23, 0x2710
	s_cselect_b32 s24, -1, 0
	s_and_b32 vcc_lo, exec_lo, s24
	s_cbranch_vccz .LBB0_785
; %bb.784:                              ;   in Loop: Header=BB0_783 Depth=3
	s_mov_b32 s26, -1
	s_or_b32 s22, s22, exec_lo
	s_and_saveexec_b32 s25, s24
	s_cbranch_execz .LBB0_782
	s_branch .LBB0_786
.LBB0_785:                              ;   in Loop: Header=BB0_783 Depth=3
	s_trap 2
	ds_load_b64 v[4:5], v0
	s_and_not1_b32 s24, s24, exec_lo
	s_mov_b32 s23, 0
	s_wait_loadcnt_dscnt 0x0
	flat_load_b32 v2, v[4:5] scope:SCOPE_SYS
	s_wait_loadcnt_dscnt 0x0
	global_inv scope:SCOPE_SYS
	v_cmp_eq_u32_e32 vcc_lo, 0, v2
	s_and_b32 s25, vcc_lo, exec_lo
	s_delay_alu instid0(SALU_CYCLE_1)
	s_or_b32 s24, s24, s25
	s_mov_b32 s26, -1
	s_or_b32 s22, s22, exec_lo
	s_and_saveexec_b32 s25, s24
	s_cbranch_execz .LBB0_782
.LBB0_786:                              ;   in Loop: Header=BB0_783 Depth=3
	s_sleep 1
	s_trap 2
	ds_load_b64 v[4:5], v0
	s_wait_dscnt 0x0
	s_and_not1_b32 s22, s22, exec_lo
	v_cmp_ge_u64_e32 vcc_lo, v[4:5], v[52:53]
	s_or_not1_b32 s26, vcc_lo, exec_lo
	s_branch .LBB0_782
.LBB0_787:                              ;   in Loop: Header=BB0_279 Depth=2
	s_or_b32 exec_lo, exec_lo, s20
	s_and_saveexec_b32 s20, s21
	s_delay_alu instid0(SALU_CYCLE_1)
	s_xor_b32 s20, exec_lo, s20
	s_cbranch_execz .LBB0_789
; %bb.788:                              ;   in Loop: Header=BB0_279 Depth=2
	ds_store_b32 v0, v1
	s_trap 2
.LBB0_789:                              ;   in Loop: Header=BB0_279 Depth=2
	s_or_b32 exec_lo, exec_lo, s19
	;;#ASMSTART
	s_wakeup
	;;#ASMEND
.LBB0_790:                              ;   in Loop: Header=BB0_279 Depth=2
	s_or_b32 exec_lo, exec_lo, s18
.LBB0_791:                              ;   in Loop: Header=BB0_279 Depth=2
	s_and_not1_saveexec_b32 s17, s17
	s_cbranch_execz .LBB0_793
; %bb.792:                              ;   in Loop: Header=BB0_279 Depth=2
	global_wb scope:SCOPE_DEV
	s_wait_storecnt 0x0
	s_wait_loadcnt_dscnt 0x0
	global_inv scope:SCOPE_DEV
	s_barrier_signal -1
	s_barrier_wait -1
.LBB0_793:                              ;   in Loop: Header=BB0_279 Depth=2
	s_or_b32 exec_lo, exec_lo, s17
	s_delay_alu instid0(SALU_CYCLE_1)
	s_or_b32 exec_lo, exec_lo, s8
	s_and_saveexec_b32 s8, s6
	s_cbranch_execnz .LBB0_317
	s_branch .LBB0_318
.LBB0_794:                              ;   in Loop: Header=BB0_42 Depth=1
	s_delay_alu instid0(VALU_DEP_1)
	v_mov_b64_e32 v[16:17], v[114:115]
	s_and_saveexec_b32 s8, s7
	s_cbranch_execnz .LBB0_797
; %bb.795:                              ;   in Loop: Header=BB0_42 Depth=1
	s_or_b32 exec_lo, exec_lo, s8
	s_and_saveexec_b32 s7, s3
	s_cbranch_execnz .LBB0_1270
.LBB0_796:                              ;   in Loop: Header=BB0_42 Depth=1
	s_or_b32 exec_lo, exec_lo, s7
	s_and_saveexec_b32 s7, s6
	s_cbranch_execz .LBB0_41
	s_branch .LBB0_1288
.LBB0_797:                              ;   in Loop: Header=BB0_42 Depth=1
	flat_load_b32 v4, v[22:23]
	v_add_nc_u64_e32 v[2:3], v[10:11], v[112:113]
	v_dual_mov_b32 v116, v0 :: v_dual_bitop2_b32 v5, 7, v34 bitop3:0x40
	s_mov_b32 s16, 0
	v_add_nc_u32_e32 v42, 1, v34
	s_wait_loadcnt_dscnt 0x0
	s_delay_alu instid0(VALU_DEP_3) | instskip(SKIP_1) | instid1(VALU_DEP_2)
	v_mad_nc_u64_u32 v[2:3], v68, v4, v[2:3]
	v_ashrrev_i32_e32 v18, 31, v4
	v_mad_u32 v3, v69, v4, v3
	v_mul_lo_u32 v4, v5, s13
	s_delay_alu instid0(VALU_DEP_2) | instskip(NEXT) | instid1(VALU_DEP_2)
	v_mad_u32 v3, v68, v18, v3
	v_ashrrev_i32_e32 v5, 31, v4
	v_add_nc_u64_e32 v[18:19], v[8:9], v[112:113]
	s_delay_alu instid0(VALU_DEP_2) | instskip(NEXT) | instid1(VALU_DEP_4)
	v_lshl_add_u64 v[114:115], v[4:5], 4, v[32:33]
	v_add_nc_u64_e32 v[112:113], v[2:3], v[84:85]
	s_branch .LBB0_799
.LBB0_798:                              ;   in Loop: Header=BB0_799 Depth=2
	v_dual_sub_nc_u32 v58, v58, v86 :: v_dual_add_nc_u32 v116, v116, v20
	v_add_nc_u64_e32 v[112:113], v[112:113], v[86:87]
	s_wait_xcnt 0x0
	v_add_nc_u64_e32 v[18:19], v[18:19], v[86:87]
	s_delay_alu instid0(VALU_DEP_3) | instskip(SKIP_1) | instid1(SALU_CYCLE_1)
	v_cmp_gt_i32_e32 vcc_lo, 1, v58
	s_or_b32 s16, vcc_lo, s16
	s_and_not1_b32 exec_lo, exec_lo, s16
	s_cbranch_execz .LBB0_1269
.LBB0_799:                              ;   Parent Loop BB0_42 Depth=1
                                        ; =>  This Loop Header: Depth=2
                                        ;       Child Loop BB0_807 Depth 3
	s_delay_alu instid0(VALU_DEP_1)
	v_dual_mov_b32 v3, v113 :: v_dual_bitop2_b32 v2, -4, v112 bitop3:0x40
	v_min_u32_e32 v4, 8, v58
	v_dual_mov_b32 v43, 0 :: v_dual_bitop2_b32 v5, 3, v112 bitop3:0x40
	v_mov_b32_e32 v45, 0
	global_load_b32 v40, v[2:3], off th:TH_LOAD_NT
	s_mov_b32 s7, exec_lo
	v_add_nc_u32_e32 v64, v5, v4
	s_wait_xcnt 0x0
	s_delay_alu instid0(VALU_DEP_1)
	v_cmpx_lt_u32_e32 4, v64
	s_cbranch_execz .LBB0_801
; %bb.800:                              ;   in Loop: Header=BB0_799 Depth=2
	global_load_b32 v45, v[2:3], off offset:4 th:TH_LOAD_NT
.LBB0_801:                              ;   in Loop: Header=BB0_799 Depth=2
	s_wait_xcnt 0x0
	s_or_b32 exec_lo, exec_lo, s7
	s_delay_alu instid0(SALU_CYCLE_1)
	s_mov_b32 s7, exec_lo
	v_cmpx_lt_u64_e32 8, v[64:65]
	s_cbranch_execz .LBB0_803
; %bb.802:                              ;   in Loop: Header=BB0_799 Depth=2
	global_load_b32 v43, v[2:3], off offset:8 th:TH_LOAD_NT
.LBB0_803:                              ;   in Loop: Header=BB0_799 Depth=2
	s_wait_xcnt 0x0
	s_or_b32 exec_lo, exec_lo, s7
	v_mov_b32_e32 v117, v65
	v_cmp_eq_u32_e32 vcc_lo, 0, v21
	v_mov_b32_e32 v21, 1
	s_delay_alu instid0(VALU_DEP_3)
	v_lshl_add_u64 v[118:119], v[116:117], 4, v[114:115]
	global_load_b128 v[2:5], v[118:119], off th:TH_LOAD_NT
	s_wait_xcnt 0x0
	s_and_saveexec_b32 s17, vcc_lo
	s_cbranch_execz .LBB0_815
; %bb.804:                              ;   in Loop: Header=BB0_799 Depth=2
	s_wait_loadcnt 0x0
	v_cmp_ne_u32_e32 vcc_lo, v42, v3
	v_cmp_ne_u32_e64 s7, v42, v5
	v_mov_b32_e32 v21, 0
	s_or_b32 s7, vcc_lo, s7
	s_delay_alu instid0(SALU_CYCLE_1)
	s_and_saveexec_b32 s18, s7
	s_cbranch_execz .LBB0_814
; %bb.805:                              ;   in Loop: Header=BB0_799 Depth=2
	s_mov_b32 s22, 1
	s_mov_b32 s20, 0
                                        ; implicit-def: $sgpr19
                                        ; implicit-def: $sgpr21
	s_branch .LBB0_807
.LBB0_806:                              ;   in Loop: Header=BB0_807 Depth=3
	s_or_b32 exec_lo, exec_lo, s24
	s_delay_alu instid0(SALU_CYCLE_1) | instskip(NEXT) | instid1(SALU_CYCLE_1)
	s_and_b32 s7, exec_lo, s7
	s_or_b32 s20, s7, s20
	s_and_not1_b32 s7, s19, exec_lo
	s_and_b32 s19, s21, exec_lo
	s_delay_alu instid0(SALU_CYCLE_1)
	s_or_b32 s19, s7, s19
	s_and_not1_b32 exec_lo, exec_lo, s20
	s_cbranch_execz .LBB0_811
.LBB0_807:                              ;   Parent Loop BB0_42 Depth=1
                                        ;     Parent Loop BB0_799 Depth=2
                                        ; =>    This Inner Loop Header: Depth=3
	s_wait_loadcnt 0x0
	global_load_b128 v[2:5], v[118:119], off th:TH_LOAD_NT
	s_add_co_i32 s22, s22, 1
	s_mov_b32 s7, -1
	s_cmp_lg_u32 s22, 0x2710
	s_mov_b32 s23, -1
                                        ; implicit-def: $vgpr64
	s_cbranch_scc0 .LBB0_809
; %bb.808:                              ;   in Loop: Header=BB0_807 Depth=3
	s_or_b32 s21, s21, exec_lo
	s_wait_xcnt 0x0
	s_and_saveexec_b32 s24, s23
	s_cbranch_execz .LBB0_806
	s_branch .LBB0_810
.LBB0_809:                              ;   in Loop: Header=BB0_807 Depth=3
	s_trap 2
	ds_load_b64 v[46:47], v0
	s_mov_b32 s22, 0
	s_wait_storecnt 0x0
	s_wait_loadcnt_dscnt 0x0
	flat_load_b32 v64, v[46:47] scope:SCOPE_SYS
	s_wait_loadcnt_dscnt 0x0
	global_inv scope:SCOPE_SYS
	v_cmp_eq_u32_e32 vcc_lo, 0, v64
	s_or_not1_b32 s23, vcc_lo, exec_lo
	s_or_b32 s21, s21, exec_lo
	s_wait_xcnt 0x0
	s_and_saveexec_b32 s24, s23
	s_cbranch_execz .LBB0_806
.LBB0_810:                              ;   in Loop: Header=BB0_807 Depth=3
	s_wait_loadcnt 0x0
	v_cmp_eq_u32_e32 vcc_lo, v42, v3
	v_cmp_eq_u32_e64 s7, v42, v5
	s_and_not1_b32 s21, s21, exec_lo
	s_and_b32 s7, vcc_lo, s7
	s_delay_alu instid0(SALU_CYCLE_1)
	s_or_not1_b32 s7, s7, exec_lo
	s_branch .LBB0_806
.LBB0_811:                              ;   in Loop: Header=BB0_799 Depth=2
	s_or_b32 exec_lo, exec_lo, s20
	v_mov_b32_e32 v21, 0
	s_and_saveexec_b32 s7, s19
	s_delay_alu instid0(SALU_CYCLE_1)
	s_xor_b32 s7, exec_lo, s7
	s_cbranch_execz .LBB0_813
; %bb.812:                              ;   in Loop: Header=BB0_799 Depth=2
	v_mov_b32_e32 v21, 1
	s_wait_loadcnt 0x0
	s_wait_storecnt 0x0
	ds_store_b32 v0, v64
	s_trap 2
.LBB0_813:                              ;   in Loop: Header=BB0_799 Depth=2
	s_or_b32 exec_lo, exec_lo, s7
.LBB0_814:                              ;   in Loop: Header=BB0_799 Depth=2
	s_delay_alu instid0(SALU_CYCLE_1)
	s_or_b32 exec_lo, exec_lo, s18
.LBB0_815:                              ;   in Loop: Header=BB0_799 Depth=2
	s_delay_alu instid0(SALU_CYCLE_1) | instskip(SKIP_3) | instid1(VALU_DEP_1)
	s_or_b32 exec_lo, exec_lo, s17
	v_dual_mov_b32 v117, 0 :: v_dual_lshlrev_b32 v46, 3, v112
	s_mov_b32 s7, exec_lo
	s_wait_loadcnt 0x1
	v_alignbit_b32 v64, v45, v40, v46
	s_delay_alu instid0(VALU_DEP_1) | instskip(NEXT) | instid1(VALU_DEP_1)
	v_and_b32_e32 v118, 0xff, v64
	v_cmpx_ne_u16_e32 0, v118
	s_cbranch_execz .LBB0_821
; %bb.816:                              ;   in Loop: Header=BB0_799 Depth=2
	v_bfrev_b32_e32 v117, 1
	s_mov_b32 s17, exec_lo
	v_cmpx_ne_u16_e32 0x80, v118
	s_cbranch_execz .LBB0_820
; %bb.817:                              ;   in Loop: Header=BB0_799 Depth=2
	v_and_b32_e32 v118, 0x7f, v64
	v_mov_b32_e32 v117, 0x7f800001
	s_mov_b32 s18, exec_lo
	s_delay_alu instid0(VALU_DEP_2)
	v_cmpx_ne_u32_e32 0x7f, v118
	s_cbranch_execz .LBB0_819
; %bb.818:                              ;   in Loop: Header=BB0_799 Depth=2
	v_dual_lshrrev_b32 v119, 3, v118 :: v_dual_bitop2_b32 v117, 7, v64 bitop3:0x40
	v_cmp_gt_u32_e32 vcc_lo, 8, v118
	s_delay_alu instid0(VALU_DEP_2) | instskip(NEXT) | instid1(VALU_DEP_1)
	v_clz_i32_u32_e32 v117, v117
	v_min_u32_e32 v117, 32, v117
	s_delay_alu instid0(VALU_DEP_1) | instskip(NEXT) | instid1(VALU_DEP_1)
	v_subrev_nc_u32_e32 v40, 28, v117
	v_dual_cndmask_b32 v118, 0, v40 :: v_dual_sub_nc_u32 v117, 29, v117
	s_delay_alu instid0(VALU_DEP_1) | instskip(NEXT) | instid1(VALU_DEP_2)
	v_cndmask_b32_e32 v117, v119, v117, vcc_lo
	v_lshlrev_b64_e32 v[118:119], v118, v[64:65]
	v_lshlrev_b32_e32 v119, 24, v64
	s_delay_alu instid0(VALU_DEP_3) | instskip(NEXT) | instid1(VALU_DEP_2)
	v_lshl_add_u32 v117, v117, 23, 0x3c000000
	v_and_b32_e32 v119, 0x80000000, v119
	s_delay_alu instid0(VALU_DEP_4) | instskip(NEXT) | instid1(VALU_DEP_1)
	v_lshlrev_b32_e32 v118, 20, v118
	v_and_b32_e32 v118, 0x700000, v118
	s_delay_alu instid0(VALU_DEP_1)
	v_or3_b32 v117, v118, v119, v117
.LBB0_819:                              ;   in Loop: Header=BB0_799 Depth=2
	s_or_b32 exec_lo, exec_lo, s18
.LBB0_820:                              ;   in Loop: Header=BB0_799 Depth=2
	s_delay_alu instid0(SALU_CYCLE_1)
	s_or_b32 exec_lo, exec_lo, s17
.LBB0_821:                              ;   in Loop: Header=BB0_799 Depth=2
	s_delay_alu instid0(SALU_CYCLE_1) | instskip(NEXT) | instid1(VALU_DEP_1)
	s_or_b32 exec_lo, exec_lo, s7
	v_dual_mul_f32 v118, v30, v117 :: v_dual_mov_b32 v41, v65
                                        ; implicit-def: $vgpr117
	s_mov_b32 s7, exec_lo
	s_delay_alu instid0(VALU_DEP_1) | instskip(SKIP_1) | instid1(VALU_DEP_2)
	v_and_b32_e32 v40, 0x7f800000, v118
	v_lshrrev_b32_e32 v119, 24, v118
	v_cmpx_ne_u64_e32 0x7f800000, v[40:41]
	s_xor_b32 s17, exec_lo, s7
	s_cbranch_execz .LBB0_835
; %bb.822:                              ;   in Loop: Header=BB0_799 Depth=2
	v_and_b32_e32 v40, 0x7fffffff, v118
	v_mov_b32_e32 v41, v65
	v_and_b32_e32 v44, 0x80, v119
                                        ; implicit-def: $vgpr117
	s_mov_b32 s7, exec_lo
	s_delay_alu instid0(VALU_DEP_2)
	v_cmpx_gt_u64_e32 0x43e00001, v[40:41]
	s_xor_b32 s18, exec_lo, s7
	s_cbranch_execz .LBB0_832
; %bb.823:                              ;   in Loop: Header=BB0_799 Depth=2
	v_mov_b32_e32 v117, 0
	s_mov_b32 s19, exec_lo
	v_cmpx_ne_u32_e32 0, v118
	s_cbranch_execz .LBB0_831
; %bb.824:                              ;   in Loop: Header=BB0_799 Depth=2
	v_bfe_u32 v117, v118, 23, 8
	v_and_b32_e32 v40, 0x7fffff, v118
	s_mov_b32 s20, exec_lo
	s_delay_alu instid0(VALU_DEP_2) | instskip(NEXT) | instid1(VALU_DEP_2)
	v_cmp_gt_u32_e32 vcc_lo, 0x7a, v117
	v_or_b32_e32 v41, 0x800000, v40
	v_sub_nc_u32_e32 v119, 0x79, v117
	s_delay_alu instid0(VALU_DEP_1) | instskip(SKIP_1) | instid1(VALU_DEP_4)
	v_cndmask_b32_e32 v119, 0, v119, vcc_lo
	v_cmp_eq_u32_e32 vcc_lo, 0, v117
	v_cndmask_b32_e32 v40, v41, v40, vcc_lo
	v_mov_b32_e32 v41, v65
	s_delay_alu instid0(VALU_DEP_4) | instskip(NEXT) | instid1(VALU_DEP_1)
	v_cndmask_b32_e64 v47, v119, 0x78, vcc_lo
	v_dual_add_nc_u32 v118, 20, v47 :: v_dual_add_nc_u32 v59, 19, v47
	s_delay_alu instid0(VALU_DEP_1) | instskip(NEXT) | instid1(VALU_DEP_2)
	v_lshlrev_b64_e64 v[118:119], v118, -1
	v_lshlrev_b64_e64 v[60:61], v59, 1
	s_delay_alu instid0(VALU_DEP_2) | instskip(NEXT) | instid1(VALU_DEP_3)
	v_bfi_b32 v63, v119, 0, 0
	v_bfi_b32 v62, v118, 0, v40
	v_lshrrev_b64 v[118:119], v47, v[40:41]
	s_delay_alu instid0(VALU_DEP_1) | instskip(NEXT) | instid1(VALU_DEP_3)
	v_mov_b64_e32 v[40:41], v[118:119]
	v_cmpx_eq_u64_e64 v[62:63], v[60:61]
; %bb.825:                              ;   in Loop: Header=BB0_799 Depth=2
	v_bfe_u32 v40, v118, 20, 1
	v_mov_b32_e32 v41, v65
	s_delay_alu instid0(VALU_DEP_1) | instskip(NEXT) | instid1(VALU_DEP_1)
	v_add_nc_u64_e32 v[40:41], v[118:119], v[40:41]
	v_add_nc_u64_e32 v[40:41], -1, v[40:41]
; %bb.826:                              ;   in Loop: Header=BB0_799 Depth=2
	s_or_b32 exec_lo, exec_lo, s20
	v_add_nc_u32_e32 v117, 0xffffff81, v117
	v_lshrrev_b32_e32 v119, 23, v118
	s_mov_b32 s7, exec_lo
	s_delay_alu instid0(VALU_DEP_2) | instskip(NEXT) | instid1(VALU_DEP_1)
	v_cndmask_b32_e64 v117, v117, 0xffffff82, vcc_lo
	v_add3_u32 v41, v47, v117, v119
	v_and_b32_e32 v117, 0xfffff, v40
	s_delay_alu instid0(VALU_DEP_2) | instskip(NEXT) | instid1(VALU_DEP_2)
	v_dual_mov_b32 v119, v65 :: v_dual_add_nc_u32 v40, 6, v41
	v_add_nc_u32_e32 v118, v117, v118
                                        ; implicit-def: $vgpr117
	s_delay_alu instid0(VALU_DEP_2)
	v_cmpx_ne_u32_e32 0, v40
	s_xor_b32 s7, exec_lo, s7
; %bb.827:                              ;   in Loop: Header=BB0_799 Depth=2
	s_delay_alu instid0(VALU_DEP_2) | instskip(SKIP_1) | instid1(VALU_DEP_1)
	v_cmp_lt_u64_e32 vcc_lo, 0xffffff, v[118:119]
	v_add_nc_u32_e32 v117, 7, v41
	v_cndmask_b32_e32 v117, v40, v117, vcc_lo
	v_cndmask_b32_e64 v40, 0, 1, vcc_lo
	s_delay_alu instid0(VALU_DEP_1)
	v_lshrrev_b64 v[118:119], v40, v[118:119]
; %bb.828:                              ;   in Loop: Header=BB0_799 Depth=2
	s_and_not1_saveexec_b32 s7, s7
; %bb.829:                              ;   in Loop: Header=BB0_799 Depth=2
	s_delay_alu instid0(VALU_DEP_1)
	v_bfe_u32 v117, v118, 23, 1
; %bb.830:                              ;   in Loop: Header=BB0_799 Depth=2
	s_or_b32 exec_lo, exec_lo, s7
	s_delay_alu instid0(VALU_DEP_2) | instskip(NEXT) | instid1(VALU_DEP_2)
	v_lshrrev_b64 v[118:119], 20, v[118:119]
	v_cmp_gt_i32_e32 vcc_lo, 16, v117
	v_min_i32_e32 v40, 15, v117
	v_cmp_eq_u32_e64 s7, 0, v117
	s_delay_alu instid0(VALU_DEP_2) | instskip(SKIP_1) | instid1(VALU_DEP_2)
	v_dual_cndmask_b32 v119, 0, v119 :: v_dual_lshlrev_b32 v40, 3, v40
	v_cndmask_b32_e32 v118, 7, v118, vcc_lo
	v_and_b32_e32 v40, 0xf8, v40
	s_delay_alu instid0(VALU_DEP_2) | instskip(NEXT) | instid1(VALU_DEP_2)
	v_cmp_eq_u64_e32 vcc_lo, 0, v[118:119]
	v_and_or_b32 v117, v118, 7, v40
	s_and_b32 s7, s7, vcc_lo
	s_delay_alu instid0(VALU_DEP_1) | instid1(SALU_CYCLE_1)
	v_cndmask_b32_e64 v117, v117, 0, s7
	s_delay_alu instid0(VALU_DEP_1)
	v_or_b32_e32 v117, v117, v44
.LBB0_831:                              ;   in Loop: Header=BB0_799 Depth=2
	s_or_b32 exec_lo, exec_lo, s19
                                        ; implicit-def: $vgpr44
.LBB0_832:                              ;   in Loop: Header=BB0_799 Depth=2
	s_and_not1_saveexec_b32 s7, s18
; %bb.833:                              ;   in Loop: Header=BB0_799 Depth=2
	v_or_b32_e32 v117, 0x7e, v44
; %bb.834:                              ;   in Loop: Header=BB0_799 Depth=2
	s_or_b32 exec_lo, exec_lo, s7
                                        ; implicit-def: $vgpr119
.LBB0_835:                              ;   in Loop: Header=BB0_799 Depth=2
	s_and_not1_saveexec_b32 s7, s17
; %bb.836:                              ;   in Loop: Header=BB0_799 Depth=2
	v_or_b32_e32 v117, 0x7f, v119
; %bb.837:                              ;   in Loop: Header=BB0_799 Depth=2
	s_or_b32 exec_lo, exec_lo, s7
	v_lshrrev_b16 v119, 8, v64
	v_mov_b32_e32 v118, 0
	s_mov_b32 s7, exec_lo
	s_delay_alu instid0(VALU_DEP_2)
	v_cmpx_ne_u16_e32 0, v119
	s_cbranch_execz .LBB0_845
; %bb.838:                              ;   in Loop: Header=BB0_799 Depth=2
	v_bfrev_b32_e32 v118, 1
	s_mov_b32 s17, exec_lo
	v_cmpx_ne_u16_e32 0x80, v119
	s_cbranch_execz .LBB0_844
; %bb.839:                              ;   in Loop: Header=BB0_799 Depth=2
	v_and_b32_e32 v119, 0xffff, v119
	v_mov_b32_e32 v118, 0x7f800001
	s_mov_b32 s18, exec_lo
	s_delay_alu instid0(VALU_DEP_2) | instskip(NEXT) | instid1(VALU_DEP_1)
	v_and_b32_e32 v41, 0x7f, v119
	v_cmpx_ne_u32_e32 0x7f, v41
	s_cbranch_execz .LBB0_843
; %bb.840:                              ;   in Loop: Header=BB0_799 Depth=2
	v_dual_mov_b32 v119, v65 :: v_dual_bitop2_b32 v118, 7, v119 bitop3:0x40
	v_lshrrev_b32_e32 v40, 3, v41
	s_mov_b32 s19, exec_lo
	v_cmpx_gt_u32_e32 8, v41
; %bb.841:                              ;   in Loop: Header=BB0_799 Depth=2
	s_delay_alu instid0(VALU_DEP_3) | instskip(NEXT) | instid1(VALU_DEP_1)
	v_clz_i32_u32_e32 v40, v118
	v_min_u32_e32 v40, 32, v40
	s_delay_alu instid0(VALU_DEP_1) | instskip(NEXT) | instid1(VALU_DEP_1)
	v_subrev_nc_u32_e32 v41, 28, v40
	v_lshlrev_b64_e32 v[118:119], v41, v[118:119]
	s_delay_alu instid0(VALU_DEP_1)
	v_dual_sub_nc_u32 v40, 29, v40 :: v_dual_bitop2_b32 v118, 7, v118 bitop3:0x40
; %bb.842:                              ;   in Loop: Header=BB0_799 Depth=2
	s_or_b32 exec_lo, exec_lo, s19
	s_delay_alu instid0(VALU_DEP_1) | instskip(NEXT) | instid1(VALU_DEP_2)
	v_dual_lshlrev_b32 v119, 16, v64 :: v_dual_lshlrev_b32 v118, 20, v118
	v_lshl_add_u32 v40, v40, 23, 0x3c000000
	s_delay_alu instid0(VALU_DEP_2) | instskip(NEXT) | instid1(VALU_DEP_1)
	v_and_b32_e32 v119, 0x80000000, v119
	v_or3_b32 v118, v118, v119, v40
.LBB0_843:                              ;   in Loop: Header=BB0_799 Depth=2
	s_or_b32 exec_lo, exec_lo, s18
.LBB0_844:                              ;   in Loop: Header=BB0_799 Depth=2
	s_delay_alu instid0(SALU_CYCLE_1)
	s_or_b32 exec_lo, exec_lo, s17
.LBB0_845:                              ;   in Loop: Header=BB0_799 Depth=2
	s_delay_alu instid0(SALU_CYCLE_1) | instskip(NEXT) | instid1(VALU_DEP_1)
	s_or_b32 exec_lo, exec_lo, s7
	v_dual_mul_f32 v118, v30, v118 :: v_dual_mov_b32 v41, v65
                                        ; implicit-def: $vgpr44
	s_mov_b32 s7, exec_lo
	s_delay_alu instid0(VALU_DEP_1) | instskip(SKIP_1) | instid1(VALU_DEP_2)
	v_and_b32_e32 v40, 0x7f800000, v118
	v_lshrrev_b32_e32 v119, 24, v118
	v_cmpx_ne_u64_e32 0x7f800000, v[40:41]
	s_xor_b32 s17, exec_lo, s7
	s_cbranch_execz .LBB0_859
; %bb.846:                              ;   in Loop: Header=BB0_799 Depth=2
	v_and_b32_e32 v40, 0x7fffffff, v118
	v_mov_b32_e32 v41, v65
	v_and_b32_e32 v47, 0x80, v119
                                        ; implicit-def: $vgpr44
	s_mov_b32 s7, exec_lo
	s_delay_alu instid0(VALU_DEP_2)
	v_cmpx_gt_u64_e32 0x43e00001, v[40:41]
	s_xor_b32 s18, exec_lo, s7
	s_cbranch_execz .LBB0_856
; %bb.847:                              ;   in Loop: Header=BB0_799 Depth=2
	v_mov_b32_e32 v44, 0
	s_mov_b32 s19, exec_lo
	v_cmpx_ne_u32_e32 0, v118
	s_cbranch_execz .LBB0_855
; %bb.848:                              ;   in Loop: Header=BB0_799 Depth=2
	v_bfe_u32 v44, v118, 23, 8
	v_and_b32_e32 v40, 0x7fffff, v118
	s_mov_b32 s20, exec_lo
	s_delay_alu instid0(VALU_DEP_2) | instskip(SKIP_1) | instid1(VALU_DEP_3)
	v_sub_nc_u32_e32 v119, 0x79, v44
	v_cmp_gt_u32_e32 vcc_lo, 0x7a, v44
	v_or_b32_e32 v41, 0x800000, v40
	s_delay_alu instid0(VALU_DEP_3) | instskip(SKIP_1) | instid1(VALU_DEP_3)
	v_cndmask_b32_e32 v119, 0, v119, vcc_lo
	v_cmp_eq_u32_e32 vcc_lo, 0, v44
	v_cndmask_b32_e32 v40, v41, v40, vcc_lo
	s_delay_alu instid0(VALU_DEP_3) | instskip(NEXT) | instid1(VALU_DEP_1)
	v_cndmask_b32_e64 v59, v119, 0x78, vcc_lo
	v_dual_mov_b32 v41, v65 :: v_dual_add_nc_u32 v118, 20, v59
	v_add_nc_u32_e32 v60, 19, v59
	s_delay_alu instid0(VALU_DEP_2) | instskip(NEXT) | instid1(VALU_DEP_2)
	v_lshlrev_b64_e64 v[118:119], v118, -1
	v_lshlrev_b64_e64 v[60:61], v60, 1
	s_delay_alu instid0(VALU_DEP_2) | instskip(NEXT) | instid1(VALU_DEP_3)
	v_bfi_b32 v63, v119, 0, 0
	v_bfi_b32 v62, v118, 0, v40
	v_lshrrev_b64 v[118:119], v59, v[40:41]
	s_delay_alu instid0(VALU_DEP_1) | instskip(NEXT) | instid1(VALU_DEP_3)
	v_mov_b64_e32 v[40:41], v[118:119]
	v_cmpx_eq_u64_e64 v[62:63], v[60:61]
; %bb.849:                              ;   in Loop: Header=BB0_799 Depth=2
	v_bfe_u32 v40, v118, 20, 1
	v_mov_b32_e32 v41, v65
	s_delay_alu instid0(VALU_DEP_1) | instskip(NEXT) | instid1(VALU_DEP_1)
	v_add_nc_u64_e32 v[40:41], v[118:119], v[40:41]
	v_add_nc_u64_e32 v[40:41], -1, v[40:41]
; %bb.850:                              ;   in Loop: Header=BB0_799 Depth=2
	s_or_b32 exec_lo, exec_lo, s20
	v_add_nc_u32_e32 v119, 0xffffff81, v44
	v_lshrrev_b32_e32 v41, 23, v118
	s_mov_b32 s7, exec_lo
	s_delay_alu instid0(VALU_DEP_2) | instskip(NEXT) | instid1(VALU_DEP_1)
	v_cndmask_b32_e64 v119, v119, 0xffffff82, vcc_lo
	v_add3_u32 v41, v59, v119, v41
	v_and_b32_e32 v119, 0xfffff, v40
                                        ; implicit-def: $vgpr40
	s_delay_alu instid0(VALU_DEP_1) | instskip(SKIP_1) | instid1(VALU_DEP_2)
	v_dual_add_nc_u32 v44, 6, v41 :: v_dual_add_nc_u32 v118, v119, v118
	v_mov_b32_e32 v119, v65
	v_cmpx_ne_u32_e32 0, v44
	s_xor_b32 s7, exec_lo, s7
; %bb.851:                              ;   in Loop: Header=BB0_799 Depth=2
	s_delay_alu instid0(VALU_DEP_2) | instskip(SKIP_2) | instid1(VALU_DEP_2)
	v_cmp_lt_u64_e32 vcc_lo, 0xffffff, v[118:119]
	v_add_nc_u32_e32 v40, 7, v41
	v_cndmask_b32_e64 v41, 0, 1, vcc_lo
	v_cndmask_b32_e32 v40, v44, v40, vcc_lo
	s_delay_alu instid0(VALU_DEP_2)
	v_lshrrev_b64 v[118:119], v41, v[118:119]
; %bb.852:                              ;   in Loop: Header=BB0_799 Depth=2
	s_and_not1_saveexec_b32 s7, s7
; %bb.853:                              ;   in Loop: Header=BB0_799 Depth=2
	s_delay_alu instid0(VALU_DEP_1)
	v_bfe_u32 v40, v118, 23, 1
; %bb.854:                              ;   in Loop: Header=BB0_799 Depth=2
	s_or_b32 exec_lo, exec_lo, s7
	s_delay_alu instid0(VALU_DEP_2) | instskip(NEXT) | instid1(VALU_DEP_2)
	v_lshrrev_b64 v[118:119], 20, v[118:119]
	v_cmp_gt_i32_e32 vcc_lo, 16, v40
	v_min_i32_e32 v41, 15, v40
	v_cmp_eq_u32_e64 s7, 0, v40
	s_delay_alu instid0(VALU_DEP_2) | instskip(SKIP_1) | instid1(VALU_DEP_2)
	v_dual_cndmask_b32 v119, 0, v119, vcc_lo :: v_dual_lshlrev_b32 v41, 3, v41
	v_cndmask_b32_e32 v118, 7, v118, vcc_lo
	v_and_b32_e32 v41, 0xf8, v41
	s_delay_alu instid0(VALU_DEP_2) | instskip(NEXT) | instid1(VALU_DEP_2)
	v_cmp_eq_u64_e32 vcc_lo, 0, v[118:119]
	v_and_or_b32 v118, v118, 7, v41
	s_and_b32 s7, s7, vcc_lo
	s_delay_alu instid0(VALU_DEP_1) | instid1(SALU_CYCLE_1)
	v_cndmask_b32_e64 v118, v118, 0, s7
	s_delay_alu instid0(VALU_DEP_1)
	v_or_b32_e32 v44, v118, v47
.LBB0_855:                              ;   in Loop: Header=BB0_799 Depth=2
	s_or_b32 exec_lo, exec_lo, s19
                                        ; implicit-def: $vgpr47
.LBB0_856:                              ;   in Loop: Header=BB0_799 Depth=2
	s_and_not1_saveexec_b32 s7, s18
; %bb.857:                              ;   in Loop: Header=BB0_799 Depth=2
	v_or_b32_e32 v44, 0x7e, v47
; %bb.858:                              ;   in Loop: Header=BB0_799 Depth=2
	s_or_b32 exec_lo, exec_lo, s7
                                        ; implicit-def: $vgpr119
.LBB0_859:                              ;   in Loop: Header=BB0_799 Depth=2
	s_and_not1_saveexec_b32 s7, s17
; %bb.860:                              ;   in Loop: Header=BB0_799 Depth=2
	v_or_b32_e32 v44, 0x7f, v119
; %bb.861:                              ;   in Loop: Header=BB0_799 Depth=2
	s_or_b32 exec_lo, exec_lo, s7
	v_dual_lshrrev_b32 v40, 16, v64 :: v_dual_mov_b32 v118, 0
	s_mov_b32 s7, exec_lo
	s_delay_alu instid0(VALU_DEP_1) | instskip(NEXT) | instid1(VALU_DEP_1)
	v_and_b32_e32 v119, 0xff, v40
	v_cmpx_ne_u16_e32 0, v119
	s_cbranch_execz .LBB0_869
; %bb.862:                              ;   in Loop: Header=BB0_799 Depth=2
	v_bfrev_b32_e32 v118, 1
	s_mov_b32 s17, exec_lo
	v_cmpx_ne_u16_e32 0x80, v119
	s_cbranch_execz .LBB0_868
; %bb.863:                              ;   in Loop: Header=BB0_799 Depth=2
	v_bfe_u32 v47, v64, 16, 7
	v_mov_b32_e32 v118, 0x7f800001
	s_mov_b32 s18, exec_lo
	s_delay_alu instid0(VALU_DEP_2)
	v_cmpx_ne_u32_e32 0x7f, v47
	s_cbranch_execz .LBB0_867
; %bb.864:                              ;   in Loop: Header=BB0_799 Depth=2
	v_dual_mov_b32 v119, v65 :: v_dual_bitop2_b32 v118, 7, v40 bitop3:0x40
	v_lshrrev_b32_e32 v41, 3, v47
	s_mov_b32 s19, exec_lo
	v_cmpx_gt_u32_e32 8, v47
; %bb.865:                              ;   in Loop: Header=BB0_799 Depth=2
	s_delay_alu instid0(VALU_DEP_3) | instskip(NEXT) | instid1(VALU_DEP_1)
	v_clz_i32_u32_e32 v41, v118
	v_min_u32_e32 v41, 32, v41
	s_delay_alu instid0(VALU_DEP_1) | instskip(NEXT) | instid1(VALU_DEP_1)
	v_subrev_nc_u32_e32 v47, 28, v41
	v_lshlrev_b64_e32 v[118:119], v47, v[118:119]
	s_delay_alu instid0(VALU_DEP_1)
	v_dual_sub_nc_u32 v41, 29, v41 :: v_dual_bitop2_b32 v118, 7, v118 bitop3:0x40
; %bb.866:                              ;   in Loop: Header=BB0_799 Depth=2
	s_or_b32 exec_lo, exec_lo, s19
	s_delay_alu instid0(VALU_DEP_1) | instskip(NEXT) | instid1(VALU_DEP_2)
	v_dual_lshlrev_b32 v119, 24, v40 :: v_dual_lshlrev_b32 v118, 20, v118
	v_lshl_add_u32 v40, v41, 23, 0x3c000000
	s_delay_alu instid0(VALU_DEP_2) | instskip(NEXT) | instid1(VALU_DEP_1)
	v_and_b32_e32 v119, 0x80000000, v119
	v_or3_b32 v118, v118, v119, v40
.LBB0_867:                              ;   in Loop: Header=BB0_799 Depth=2
	s_or_b32 exec_lo, exec_lo, s18
.LBB0_868:                              ;   in Loop: Header=BB0_799 Depth=2
	s_delay_alu instid0(SALU_CYCLE_1)
	s_or_b32 exec_lo, exec_lo, s17
.LBB0_869:                              ;   in Loop: Header=BB0_799 Depth=2
	s_delay_alu instid0(SALU_CYCLE_1) | instskip(NEXT) | instid1(VALU_DEP_1)
	s_or_b32 exec_lo, exec_lo, s7
	v_dual_mul_f32 v118, v30, v118 :: v_dual_mov_b32 v41, v65
                                        ; implicit-def: $vgpr59
	s_mov_b32 s7, exec_lo
	s_delay_alu instid0(VALU_DEP_1) | instskip(SKIP_1) | instid1(VALU_DEP_2)
	v_and_b32_e32 v40, 0x7f800000, v118
	v_lshrrev_b32_e32 v119, 24, v118
	v_cmpx_ne_u64_e32 0x7f800000, v[40:41]
	s_xor_b32 s17, exec_lo, s7
	s_cbranch_execz .LBB0_883
; %bb.870:                              ;   in Loop: Header=BB0_799 Depth=2
	v_and_b32_e32 v40, 0x7fffffff, v118
	v_mov_b32_e32 v41, v65
	v_and_b32_e32 v47, 0x80, v119
                                        ; implicit-def: $vgpr59
	s_mov_b32 s7, exec_lo
	s_delay_alu instid0(VALU_DEP_2)
	v_cmpx_gt_u64_e32 0x43e00001, v[40:41]
	s_xor_b32 s18, exec_lo, s7
	s_cbranch_execz .LBB0_880
; %bb.871:                              ;   in Loop: Header=BB0_799 Depth=2
	v_mov_b32_e32 v59, 0
	s_mov_b32 s19, exec_lo
	v_cmpx_ne_u32_e32 0, v118
	s_cbranch_execz .LBB0_879
; %bb.872:                              ;   in Loop: Header=BB0_799 Depth=2
	v_bfe_u32 v59, v118, 23, 8
	v_and_b32_e32 v119, 0x7fffff, v118
	s_delay_alu instid0(VALU_DEP_2) | instskip(SKIP_2) | instid1(VALU_DEP_4)
	v_cmp_gt_u32_e64 s7, 0x7a, v59
	v_sub_nc_u32_e32 v118, 0x79, v59
	v_cmp_eq_u32_e32 vcc_lo, 0, v59
	v_or_b32_e32 v40, 0x800000, v119
	s_delay_alu instid0(VALU_DEP_3) | instskip(NEXT) | instid1(VALU_DEP_1)
	v_cndmask_b32_e64 v118, 0, v118, s7
	v_cndmask_b32_e64 v60, v118, 0x78, vcc_lo
	s_delay_alu instid0(VALU_DEP_3) | instskip(NEXT) | instid1(VALU_DEP_2)
	v_dual_cndmask_b32 v118, v40, v119 :: v_dual_mov_b32 v119, v65
	v_dual_add_nc_u32 v40, 20, v60 :: v_dual_add_nc_u32 v61, 19, v60
	s_delay_alu instid0(VALU_DEP_1) | instskip(NEXT) | instid1(VALU_DEP_2)
	v_lshlrev_b64_e64 v[40:41], v40, -1
	v_lshlrev_b64_e64 v[62:63], v61, 1
	s_delay_alu instid0(VALU_DEP_2) | instskip(SKIP_1) | instid1(VALU_DEP_4)
	v_bfi_b32 v40, v40, 0, v118
	v_lshrrev_b64 v[118:119], v60, v[118:119]
	v_bfi_b32 v41, v41, 0, 0
	s_delay_alu instid0(VALU_DEP_1) | instskip(NEXT) | instid1(VALU_DEP_3)
	v_cmp_eq_u64_e64 s7, v[40:41], v[62:63]
	v_mov_b64_e32 v[40:41], v[118:119]
	s_and_saveexec_b32 s20, s7
; %bb.873:                              ;   in Loop: Header=BB0_799 Depth=2
	v_bfe_u32 v40, v118, 20, 1
	v_mov_b32_e32 v41, v65
	s_delay_alu instid0(VALU_DEP_1) | instskip(NEXT) | instid1(VALU_DEP_1)
	v_add_nc_u64_e32 v[40:41], v[118:119], v[40:41]
	v_add_nc_u64_e32 v[40:41], -1, v[40:41]
; %bb.874:                              ;   in Loop: Header=BB0_799 Depth=2
	s_or_b32 exec_lo, exec_lo, s20
	v_add_nc_u32_e32 v119, 0xffffff81, v59
	v_lshrrev_b32_e32 v41, 23, v118
	s_mov_b32 s7, exec_lo
	s_delay_alu instid0(VALU_DEP_2) | instskip(NEXT) | instid1(VALU_DEP_1)
	v_cndmask_b32_e64 v119, v119, 0xffffff82, vcc_lo
	v_add3_u32 v41, v60, v119, v41
	v_and_b32_e32 v119, 0xfffff, v40
                                        ; implicit-def: $vgpr40
	s_delay_alu instid0(VALU_DEP_1) | instskip(SKIP_1) | instid1(VALU_DEP_2)
	v_dual_add_nc_u32 v59, 6, v41 :: v_dual_add_nc_u32 v118, v119, v118
	v_mov_b32_e32 v119, v65
	v_cmpx_ne_u32_e32 0, v59
	s_xor_b32 s7, exec_lo, s7
; %bb.875:                              ;   in Loop: Header=BB0_799 Depth=2
	s_delay_alu instid0(VALU_DEP_2) | instskip(SKIP_2) | instid1(VALU_DEP_2)
	v_cmp_lt_u64_e32 vcc_lo, 0xffffff, v[118:119]
	v_add_nc_u32_e32 v40, 7, v41
	v_cndmask_b32_e64 v41, 0, 1, vcc_lo
	v_cndmask_b32_e32 v40, v59, v40, vcc_lo
	s_delay_alu instid0(VALU_DEP_2)
	v_lshrrev_b64 v[118:119], v41, v[118:119]
; %bb.876:                              ;   in Loop: Header=BB0_799 Depth=2
	s_and_not1_saveexec_b32 s7, s7
; %bb.877:                              ;   in Loop: Header=BB0_799 Depth=2
	s_delay_alu instid0(VALU_DEP_1)
	v_bfe_u32 v40, v118, 23, 1
; %bb.878:                              ;   in Loop: Header=BB0_799 Depth=2
	s_or_b32 exec_lo, exec_lo, s7
	s_delay_alu instid0(VALU_DEP_2) | instskip(NEXT) | instid1(VALU_DEP_2)
	v_lshrrev_b64 v[118:119], 20, v[118:119]
	v_cmp_gt_i32_e32 vcc_lo, 16, v40
	v_min_i32_e32 v41, 15, v40
	v_cmp_eq_u32_e64 s7, 0, v40
	s_delay_alu instid0(VALU_DEP_2) | instskip(SKIP_1) | instid1(VALU_DEP_2)
	v_dual_cndmask_b32 v119, 0, v119, vcc_lo :: v_dual_lshlrev_b32 v41, 3, v41
	v_cndmask_b32_e32 v118, 7, v118, vcc_lo
	v_and_b32_e32 v41, 0xf8, v41
	s_delay_alu instid0(VALU_DEP_2) | instskip(NEXT) | instid1(VALU_DEP_2)
	v_cmp_eq_u64_e32 vcc_lo, 0, v[118:119]
	v_and_or_b32 v118, v118, 7, v41
	s_and_b32 s7, s7, vcc_lo
	s_delay_alu instid0(VALU_DEP_1) | instid1(SALU_CYCLE_1)
	v_cndmask_b32_e64 v118, v118, 0, s7
	s_delay_alu instid0(VALU_DEP_1)
	v_or_b32_e32 v59, v118, v47
.LBB0_879:                              ;   in Loop: Header=BB0_799 Depth=2
	s_or_b32 exec_lo, exec_lo, s19
                                        ; implicit-def: $vgpr47
.LBB0_880:                              ;   in Loop: Header=BB0_799 Depth=2
	s_and_not1_saveexec_b32 s7, s18
; %bb.881:                              ;   in Loop: Header=BB0_799 Depth=2
	v_or_b32_e32 v59, 0x7e, v47
; %bb.882:                              ;   in Loop: Header=BB0_799 Depth=2
	s_or_b32 exec_lo, exec_lo, s7
                                        ; implicit-def: $vgpr119
.LBB0_883:                              ;   in Loop: Header=BB0_799 Depth=2
	s_and_not1_saveexec_b32 s7, s17
; %bb.884:                              ;   in Loop: Header=BB0_799 Depth=2
	v_or_b32_e32 v59, 0x7f, v119
; %bb.885:                              ;   in Loop: Header=BB0_799 Depth=2
	s_or_b32 exec_lo, exec_lo, s7
	v_mov_b32_e32 v119, 0
	s_mov_b32 s7, exec_lo
	v_cmpx_lt_u32_e32 0xffffff, v64
	s_cbranch_execz .LBB0_893
; %bb.886:                              ;   in Loop: Header=BB0_799 Depth=2
	v_lshrrev_b32_e32 v118, 24, v64
	v_bfrev_b32_e32 v119, 1
	s_mov_b32 s17, exec_lo
	s_delay_alu instid0(VALU_DEP_2)
	v_cmpx_ne_u32_e32 0x80, v118
	s_cbranch_execz .LBB0_892
; %bb.887:                              ;   in Loop: Header=BB0_799 Depth=2
	v_bfe_u32 v40, v64, 24, 7
	v_mov_b32_e32 v119, 0x7f800001
	s_mov_b32 s18, exec_lo
	s_delay_alu instid0(VALU_DEP_2)
	v_cmpx_ne_u32_e32 0x7f, v40
	s_cbranch_execz .LBB0_891
; %bb.888:                              ;   in Loop: Header=BB0_799 Depth=2
	v_dual_lshrrev_b32 v119, 3, v40 :: v_dual_bitop2_b32 v64, 7, v118 bitop3:0x40
	s_mov_b32 s19, exec_lo
	v_cmpx_gt_u32_e32 8, v40
; %bb.889:                              ;   in Loop: Header=BB0_799 Depth=2
	s_delay_alu instid0(VALU_DEP_2) | instskip(NEXT) | instid1(VALU_DEP_1)
	v_clz_i32_u32_e32 v119, v64
	v_min_u32_e32 v119, 32, v119
	s_delay_alu instid0(VALU_DEP_1) | instskip(NEXT) | instid1(VALU_DEP_1)
	v_subrev_nc_u32_e32 v40, 28, v119
	v_lshlrev_b64_e32 v[40:41], v40, v[64:65]
	s_delay_alu instid0(VALU_DEP_1)
	v_dual_sub_nc_u32 v119, 29, v119 :: v_dual_bitop2_b32 v64, 7, v40 bitop3:0x40
; %bb.890:                              ;   in Loop: Header=BB0_799 Depth=2
	s_or_b32 exec_lo, exec_lo, s19
	s_delay_alu instid0(VALU_DEP_1) | instskip(NEXT) | instid1(VALU_DEP_2)
	v_dual_lshlrev_b32 v118, 24, v118 :: v_dual_lshlrev_b32 v64, 20, v64
	v_lshl_add_u32 v119, v119, 23, 0x3c000000
	s_delay_alu instid0(VALU_DEP_2) | instskip(NEXT) | instid1(VALU_DEP_1)
	v_and_b32_e32 v118, 0x80000000, v118
	v_or3_b32 v119, v64, v118, v119
.LBB0_891:                              ;   in Loop: Header=BB0_799 Depth=2
	s_or_b32 exec_lo, exec_lo, s18
.LBB0_892:                              ;   in Loop: Header=BB0_799 Depth=2
	s_delay_alu instid0(SALU_CYCLE_1)
	s_or_b32 exec_lo, exec_lo, s17
.LBB0_893:                              ;   in Loop: Header=BB0_799 Depth=2
	s_delay_alu instid0(SALU_CYCLE_1) | instskip(NEXT) | instid1(VALU_DEP_1)
	s_or_b32 exec_lo, exec_lo, s7
	v_mul_f32_e32 v118, v30, v119
                                        ; implicit-def: $vgpr60
	s_mov_b32 s7, exec_lo
	s_delay_alu instid0(VALU_DEP_1) | instskip(SKIP_1) | instid1(VALU_DEP_2)
	v_and_b32_e32 v64, 0x7f800000, v118
	v_lshrrev_b32_e32 v119, 24, v118
	v_cmpx_ne_u64_e32 0x7f800000, v[64:65]
	s_xor_b32 s17, exec_lo, s7
	s_cbranch_execz .LBB0_907
; %bb.894:                              ;   in Loop: Header=BB0_799 Depth=2
	v_and_b32_e32 v64, 0x7fffffff, v118
	v_and_b32_e32 v47, 0x80, v119
                                        ; implicit-def: $vgpr60
	s_mov_b32 s7, exec_lo
	s_delay_alu instid0(VALU_DEP_2)
	v_cmpx_gt_u64_e32 0x43e00001, v[64:65]
	s_xor_b32 s18, exec_lo, s7
	s_cbranch_execz .LBB0_904
; %bb.895:                              ;   in Loop: Header=BB0_799 Depth=2
	v_mov_b32_e32 v60, 0
	s_mov_b32 s19, exec_lo
	v_cmpx_ne_u32_e32 0, v118
	s_cbranch_execz .LBB0_903
; %bb.896:                              ;   in Loop: Header=BB0_799 Depth=2
	v_bfe_u32 v60, v118, 23, 8
	s_delay_alu instid0(VALU_DEP_1) | instskip(SKIP_1) | instid1(VALU_DEP_2)
	v_sub_nc_u32_e32 v64, 0x79, v60
	v_cmp_gt_u32_e32 vcc_lo, 0x7a, v60
	v_cndmask_b32_e32 v64, 0, v64, vcc_lo
	v_cmp_eq_u32_e32 vcc_lo, 0, v60
	s_delay_alu instid0(VALU_DEP_2) | instskip(SKIP_1) | instid1(VALU_DEP_2)
	v_cndmask_b32_e64 v61, v64, 0x78, vcc_lo
	v_and_b32_e32 v64, 0x7fffff, v118
	v_add_nc_u32_e32 v118, 20, v61
	s_delay_alu instid0(VALU_DEP_2) | instskip(SKIP_1) | instid1(VALU_DEP_3)
	v_or_b32_e32 v40, 0x800000, v64
	v_add_nc_u32_e32 v41, 19, v61
	v_lshlrev_b64_e64 v[118:119], v118, -1
	s_delay_alu instid0(VALU_DEP_3) | instskip(NEXT) | instid1(VALU_DEP_3)
	v_cndmask_b32_e32 v64, v40, v64, vcc_lo
	v_lshlrev_b64_e64 v[40:41], v41, 1
	s_delay_alu instid0(VALU_DEP_3) | instskip(NEXT) | instid1(VALU_DEP_3)
	v_bfi_b32 v63, v119, 0, 0
	v_bfi_b32 v62, v118, 0, v64
	v_lshrrev_b64 v[118:119], v61, v[64:65]
	s_delay_alu instid0(VALU_DEP_2) | instskip(NEXT) | instid1(VALU_DEP_2)
	v_cmp_eq_u64_e64 s7, v[62:63], v[40:41]
	v_mov_b64_e32 v[40:41], v[118:119]
	s_and_saveexec_b32 s20, s7
; %bb.897:                              ;   in Loop: Header=BB0_799 Depth=2
	v_bfe_u32 v64, v118, 20, 1
	s_delay_alu instid0(VALU_DEP_1) | instskip(NEXT) | instid1(VALU_DEP_1)
	v_add_nc_u64_e32 v[40:41], v[118:119], v[64:65]
	v_add_nc_u64_e32 v[40:41], -1, v[40:41]
; %bb.898:                              ;   in Loop: Header=BB0_799 Depth=2
	s_or_b32 exec_lo, exec_lo, s20
	v_add_nc_u32_e32 v64, 0xffffff81, v60
	v_lshrrev_b32_e32 v119, 23, v118
	s_mov_b32 s7, exec_lo
	s_delay_alu instid0(VALU_DEP_2) | instskip(NEXT) | instid1(VALU_DEP_1)
	v_cndmask_b32_e64 v64, v64, 0xffffff82, vcc_lo
	v_add3_u32 v41, v61, v64, v119
	v_and_b32_e32 v64, 0xfffff, v40
                                        ; implicit-def: $vgpr40
	s_delay_alu instid0(VALU_DEP_1) | instskip(NEXT) | instid1(VALU_DEP_1)
	v_dual_add_nc_u32 v60, 6, v41 :: v_dual_add_nc_u32 v64, v64, v118
                                        ; implicit-def: $vgpr118_vgpr119
	v_cmpx_ne_u32_e32 0, v60
	s_xor_b32 s7, exec_lo, s7
; %bb.899:                              ;   in Loop: Header=BB0_799 Depth=2
	s_delay_alu instid0(VALU_DEP_2) | instskip(SKIP_1) | instid1(VALU_DEP_1)
	v_cmp_lt_u64_e32 vcc_lo, 0xffffff, v[64:65]
	v_add_nc_u32_e32 v118, 7, v41
	v_cndmask_b32_e32 v40, v60, v118, vcc_lo
	v_cndmask_b32_e64 v118, 0, 1, vcc_lo
	s_delay_alu instid0(VALU_DEP_1)
	v_lshrrev_b64 v[118:119], v118, v[64:65]
; %bb.900:                              ;   in Loop: Header=BB0_799 Depth=2
	s_and_not1_saveexec_b32 s7, s7
; %bb.901:                              ;   in Loop: Header=BB0_799 Depth=2
	v_mov_b64_e32 v[118:119], v[64:65]
	v_bfe_u32 v40, v64, 23, 1
; %bb.902:                              ;   in Loop: Header=BB0_799 Depth=2
	s_or_b32 exec_lo, exec_lo, s7
	s_delay_alu instid0(VALU_DEP_2) | instskip(NEXT) | instid1(VALU_DEP_2)
	v_lshrrev_b64 v[118:119], 20, v[118:119]
	v_cmp_gt_i32_e32 vcc_lo, 16, v40
	v_min_i32_e32 v64, 15, v40
	v_cmp_eq_u32_e64 s7, 0, v40
	s_delay_alu instid0(VALU_DEP_2) | instskip(SKIP_1) | instid1(VALU_DEP_2)
	v_dual_cndmask_b32 v119, 0, v119 :: v_dual_lshlrev_b32 v64, 3, v64
	v_cndmask_b32_e32 v118, 7, v118, vcc_lo
	v_and_b32_e32 v64, 0xf8, v64
	s_delay_alu instid0(VALU_DEP_2) | instskip(NEXT) | instid1(VALU_DEP_2)
	v_cmp_eq_u64_e32 vcc_lo, 0, v[118:119]
	v_and_or_b32 v64, v118, 7, v64
	s_and_b32 s7, s7, vcc_lo
	s_delay_alu instid0(VALU_DEP_1) | instid1(SALU_CYCLE_1)
	v_cndmask_b32_e64 v64, v64, 0, s7
	s_delay_alu instid0(VALU_DEP_1)
	v_or_b32_e32 v60, v64, v47
.LBB0_903:                              ;   in Loop: Header=BB0_799 Depth=2
	s_or_b32 exec_lo, exec_lo, s19
                                        ; implicit-def: $vgpr47
.LBB0_904:                              ;   in Loop: Header=BB0_799 Depth=2
	s_and_not1_saveexec_b32 s7, s18
; %bb.905:                              ;   in Loop: Header=BB0_799 Depth=2
	v_or_b32_e32 v60, 0x7e, v47
; %bb.906:                              ;   in Loop: Header=BB0_799 Depth=2
	s_or_b32 exec_lo, exec_lo, s7
                                        ; implicit-def: $vgpr119
.LBB0_907:                              ;   in Loop: Header=BB0_799 Depth=2
	s_and_not1_saveexec_b32 s7, s17
; %bb.908:                              ;   in Loop: Header=BB0_799 Depth=2
	v_or_b32_e32 v60, 0x7f, v119
; %bb.909:                              ;   in Loop: Header=BB0_799 Depth=2
	s_or_b32 exec_lo, exec_lo, s7
	v_alignbit_b32 v64, v43, v45, v46
	v_mov_b32_e32 v118, 0
	s_mov_b32 s7, exec_lo
	s_delay_alu instid0(VALU_DEP_2) | instskip(NEXT) | instid1(VALU_DEP_1)
	v_and_b32_e32 v119, 0xff, v64
	v_cmpx_ne_u16_e32 0, v119
	s_cbranch_execz .LBB0_915
; %bb.910:                              ;   in Loop: Header=BB0_799 Depth=2
	v_bfrev_b32_e32 v118, 1
	s_mov_b32 s17, exec_lo
	v_cmpx_ne_u16_e32 0x80, v119
	s_cbranch_execz .LBB0_914
; %bb.911:                              ;   in Loop: Header=BB0_799 Depth=2
	v_and_b32_e32 v119, 0x7f, v64
	v_mov_b32_e32 v118, 0x7f800001
	s_mov_b32 s18, exec_lo
	s_delay_alu instid0(VALU_DEP_2)
	v_cmpx_ne_u32_e32 0x7f, v119
	s_cbranch_execz .LBB0_913
; %bb.912:                              ;   in Loop: Header=BB0_799 Depth=2
	v_dual_lshrrev_b32 v40, 3, v119 :: v_dual_bitop2_b32 v118, 7, v64 bitop3:0x40
	v_cmp_gt_u32_e32 vcc_lo, 8, v119
	s_delay_alu instid0(VALU_DEP_2) | instskip(NEXT) | instid1(VALU_DEP_1)
	v_clz_i32_u32_e32 v118, v118
	v_min_u32_e32 v118, 32, v118
	s_delay_alu instid0(VALU_DEP_1) | instskip(SKIP_1) | instid1(VALU_DEP_1)
	v_subrev_nc_u32_e32 v41, 28, v118
	v_sub_nc_u32_e32 v118, 29, v118
	v_dual_cndmask_b32 v40, v40, v118, vcc_lo :: v_dual_cndmask_b32 v118, 0, v41, vcc_lo
	s_delay_alu instid0(VALU_DEP_1) | instskip(NEXT) | instid1(VALU_DEP_2)
	v_lshl_add_u32 v40, v40, 23, 0x3c000000
	v_lshlrev_b64_e32 v[118:119], v118, v[64:65]
	v_lshlrev_b32_e32 v119, 24, v64
	s_delay_alu instid0(VALU_DEP_1) | instskip(NEXT) | instid1(VALU_DEP_3)
	v_and_b32_e32 v119, 0x80000000, v119
	v_lshlrev_b32_e32 v118, 20, v118
	s_delay_alu instid0(VALU_DEP_1) | instskip(NEXT) | instid1(VALU_DEP_1)
	v_and_b32_e32 v118, 0x700000, v118
	v_or3_b32 v118, v118, v119, v40
.LBB0_913:                              ;   in Loop: Header=BB0_799 Depth=2
	s_or_b32 exec_lo, exec_lo, s18
.LBB0_914:                              ;   in Loop: Header=BB0_799 Depth=2
	s_delay_alu instid0(SALU_CYCLE_1)
	s_or_b32 exec_lo, exec_lo, s17
.LBB0_915:                              ;   in Loop: Header=BB0_799 Depth=2
	s_delay_alu instid0(SALU_CYCLE_1) | instskip(NEXT) | instid1(VALU_DEP_1)
	s_or_b32 exec_lo, exec_lo, s7
	v_dual_mul_f32 v118, v30, v118 :: v_dual_mov_b32 v41, v65
                                        ; implicit-def: $vgpr43
	s_mov_b32 s7, exec_lo
	s_delay_alu instid0(VALU_DEP_1) | instskip(SKIP_1) | instid1(VALU_DEP_2)
	v_and_b32_e32 v40, 0x7f800000, v118
	v_lshrrev_b32_e32 v119, 24, v118
	v_cmpx_ne_u64_e32 0x7f800000, v[40:41]
	s_xor_b32 s17, exec_lo, s7
	s_cbranch_execz .LBB0_929
; %bb.916:                              ;   in Loop: Header=BB0_799 Depth=2
	v_and_b32_e32 v40, 0x7fffffff, v118
	v_mov_b32_e32 v41, v65
	v_and_b32_e32 v45, 0x80, v119
                                        ; implicit-def: $vgpr43
	s_mov_b32 s7, exec_lo
	s_delay_alu instid0(VALU_DEP_2)
	v_cmpx_gt_u64_e32 0x43e00001, v[40:41]
	s_xor_b32 s18, exec_lo, s7
	s_cbranch_execz .LBB0_926
; %bb.917:                              ;   in Loop: Header=BB0_799 Depth=2
	v_mov_b32_e32 v43, 0
	s_mov_b32 s19, exec_lo
	v_cmpx_ne_u32_e32 0, v118
	s_cbranch_execz .LBB0_925
; %bb.918:                              ;   in Loop: Header=BB0_799 Depth=2
	v_bfe_u32 v43, v118, 23, 8
	v_and_b32_e32 v40, 0x7fffff, v118
	s_mov_b32 s20, exec_lo
	s_delay_alu instid0(VALU_DEP_2) | instskip(NEXT) | instid1(VALU_DEP_2)
	v_cmp_gt_u32_e32 vcc_lo, 0x7a, v43
	v_or_b32_e32 v41, 0x800000, v40
	v_sub_nc_u32_e32 v119, 0x79, v43
	s_delay_alu instid0(VALU_DEP_1) | instskip(SKIP_1) | instid1(VALU_DEP_2)
	v_cndmask_b32_e32 v119, 0, v119, vcc_lo
	v_cmp_eq_u32_e32 vcc_lo, 0, v43
	v_cndmask_b32_e64 v46, v119, 0x78, vcc_lo
	v_cndmask_b32_e32 v40, v41, v40, vcc_lo
	s_delay_alu instid0(VALU_DEP_2) | instskip(SKIP_1) | instid1(VALU_DEP_2)
	v_dual_mov_b32 v41, v65 :: v_dual_add_nc_u32 v47, 19, v46
	v_add_nc_u32_e32 v118, 20, v46
	v_lshlrev_b64_e64 v[62:63], v47, 1
	s_delay_alu instid0(VALU_DEP_2) | instskip(NEXT) | instid1(VALU_DEP_1)
	v_lshlrev_b64_e64 v[118:119], v118, -1
	v_bfi_b32 v73, v119, 0, 0
	s_delay_alu instid0(VALU_DEP_2) | instskip(SKIP_1) | instid1(VALU_DEP_1)
	v_bfi_b32 v72, v118, 0, v40
	v_lshrrev_b64 v[118:119], v46, v[40:41]
	v_mov_b64_e32 v[40:41], v[118:119]
	s_delay_alu instid0(VALU_DEP_3)
	v_cmpx_eq_u64_e64 v[72:73], v[62:63]
; %bb.919:                              ;   in Loop: Header=BB0_799 Depth=2
	v_bfe_u32 v40, v118, 20, 1
	v_mov_b32_e32 v41, v65
	s_delay_alu instid0(VALU_DEP_1) | instskip(NEXT) | instid1(VALU_DEP_1)
	v_add_nc_u64_e32 v[40:41], v[118:119], v[40:41]
	v_add_nc_u64_e32 v[40:41], -1, v[40:41]
; %bb.920:                              ;   in Loop: Header=BB0_799 Depth=2
	s_or_b32 exec_lo, exec_lo, s20
	v_add_nc_u32_e32 v119, 0xffffff81, v43
	v_lshrrev_b32_e32 v41, 23, v118
	s_mov_b32 s7, exec_lo
	s_delay_alu instid0(VALU_DEP_2) | instskip(NEXT) | instid1(VALU_DEP_1)
	v_cndmask_b32_e64 v119, v119, 0xffffff82, vcc_lo
	v_add3_u32 v41, v46, v119, v41
	v_and_b32_e32 v119, 0xfffff, v40
                                        ; implicit-def: $vgpr40
	s_delay_alu instid0(VALU_DEP_1) | instskip(SKIP_1) | instid1(VALU_DEP_2)
	v_dual_add_nc_u32 v43, 6, v41 :: v_dual_add_nc_u32 v118, v119, v118
	v_mov_b32_e32 v119, v65
	v_cmpx_ne_u32_e32 0, v43
	s_xor_b32 s7, exec_lo, s7
; %bb.921:                              ;   in Loop: Header=BB0_799 Depth=2
	s_delay_alu instid0(VALU_DEP_2) | instskip(SKIP_2) | instid1(VALU_DEP_2)
	v_cmp_lt_u64_e32 vcc_lo, 0xffffff, v[118:119]
	v_add_nc_u32_e32 v40, 7, v41
	v_cndmask_b32_e64 v41, 0, 1, vcc_lo
	v_cndmask_b32_e32 v40, v43, v40, vcc_lo
	s_delay_alu instid0(VALU_DEP_2)
	v_lshrrev_b64 v[118:119], v41, v[118:119]
; %bb.922:                              ;   in Loop: Header=BB0_799 Depth=2
	s_and_not1_saveexec_b32 s7, s7
; %bb.923:                              ;   in Loop: Header=BB0_799 Depth=2
	s_delay_alu instid0(VALU_DEP_1)
	v_bfe_u32 v40, v118, 23, 1
; %bb.924:                              ;   in Loop: Header=BB0_799 Depth=2
	s_or_b32 exec_lo, exec_lo, s7
	s_delay_alu instid0(VALU_DEP_2) | instskip(NEXT) | instid1(VALU_DEP_2)
	v_lshrrev_b64 v[118:119], 20, v[118:119]
	v_cmp_gt_i32_e32 vcc_lo, 16, v40
	v_min_i32_e32 v41, 15, v40
	v_cmp_eq_u32_e64 s7, 0, v40
	s_delay_alu instid0(VALU_DEP_2) | instskip(SKIP_1) | instid1(VALU_DEP_2)
	v_dual_cndmask_b32 v119, 0, v119, vcc_lo :: v_dual_lshlrev_b32 v41, 3, v41
	v_cndmask_b32_e32 v118, 7, v118, vcc_lo
	v_and_b32_e32 v41, 0xf8, v41
	s_delay_alu instid0(VALU_DEP_2) | instskip(NEXT) | instid1(VALU_DEP_2)
	v_cmp_eq_u64_e32 vcc_lo, 0, v[118:119]
	v_and_or_b32 v118, v118, 7, v41
	s_and_b32 s7, s7, vcc_lo
	s_delay_alu instid0(VALU_DEP_1) | instid1(SALU_CYCLE_1)
	v_cndmask_b32_e64 v118, v118, 0, s7
	s_delay_alu instid0(VALU_DEP_1)
	v_or_b32_e32 v43, v118, v45
.LBB0_925:                              ;   in Loop: Header=BB0_799 Depth=2
	s_or_b32 exec_lo, exec_lo, s19
                                        ; implicit-def: $vgpr45
.LBB0_926:                              ;   in Loop: Header=BB0_799 Depth=2
	s_and_not1_saveexec_b32 s7, s18
; %bb.927:                              ;   in Loop: Header=BB0_799 Depth=2
	v_or_b32_e32 v43, 0x7e, v45
; %bb.928:                              ;   in Loop: Header=BB0_799 Depth=2
	s_or_b32 exec_lo, exec_lo, s7
                                        ; implicit-def: $vgpr119
.LBB0_929:                              ;   in Loop: Header=BB0_799 Depth=2
	s_and_not1_saveexec_b32 s7, s17
; %bb.930:                              ;   in Loop: Header=BB0_799 Depth=2
	v_or_b32_e32 v43, 0x7f, v119
; %bb.931:                              ;   in Loop: Header=BB0_799 Depth=2
	s_or_b32 exec_lo, exec_lo, s7
	v_lshrrev_b16 v119, 8, v64
	v_mov_b32_e32 v118, 0
	s_mov_b32 s7, exec_lo
	s_delay_alu instid0(VALU_DEP_2)
	v_cmpx_ne_u16_e32 0, v119
	s_cbranch_execz .LBB0_939
; %bb.932:                              ;   in Loop: Header=BB0_799 Depth=2
	v_bfrev_b32_e32 v118, 1
	s_mov_b32 s17, exec_lo
	v_cmpx_ne_u16_e32 0x80, v119
	s_cbranch_execz .LBB0_938
; %bb.933:                              ;   in Loop: Header=BB0_799 Depth=2
	v_and_b32_e32 v119, 0xffff, v119
	v_mov_b32_e32 v118, 0x7f800001
	s_mov_b32 s18, exec_lo
	s_delay_alu instid0(VALU_DEP_2) | instskip(NEXT) | instid1(VALU_DEP_1)
	v_and_b32_e32 v41, 0x7f, v119
	v_cmpx_ne_u32_e32 0x7f, v41
	s_cbranch_execz .LBB0_937
; %bb.934:                              ;   in Loop: Header=BB0_799 Depth=2
	v_dual_mov_b32 v119, v65 :: v_dual_bitop2_b32 v118, 7, v119 bitop3:0x40
	v_lshrrev_b32_e32 v40, 3, v41
	s_mov_b32 s19, exec_lo
	v_cmpx_gt_u32_e32 8, v41
; %bb.935:                              ;   in Loop: Header=BB0_799 Depth=2
	s_delay_alu instid0(VALU_DEP_3) | instskip(NEXT) | instid1(VALU_DEP_1)
	v_clz_i32_u32_e32 v40, v118
	v_min_u32_e32 v40, 32, v40
	s_delay_alu instid0(VALU_DEP_1) | instskip(NEXT) | instid1(VALU_DEP_1)
	v_subrev_nc_u32_e32 v41, 28, v40
	v_lshlrev_b64_e32 v[118:119], v41, v[118:119]
	s_delay_alu instid0(VALU_DEP_1)
	v_dual_sub_nc_u32 v40, 29, v40 :: v_dual_bitop2_b32 v118, 7, v118 bitop3:0x40
; %bb.936:                              ;   in Loop: Header=BB0_799 Depth=2
	s_or_b32 exec_lo, exec_lo, s19
	s_delay_alu instid0(VALU_DEP_1) | instskip(NEXT) | instid1(VALU_DEP_2)
	v_dual_lshlrev_b32 v119, 16, v64 :: v_dual_lshlrev_b32 v118, 20, v118
	v_lshl_add_u32 v40, v40, 23, 0x3c000000
	s_delay_alu instid0(VALU_DEP_2) | instskip(NEXT) | instid1(VALU_DEP_1)
	v_and_b32_e32 v119, 0x80000000, v119
	v_or3_b32 v118, v118, v119, v40
.LBB0_937:                              ;   in Loop: Header=BB0_799 Depth=2
	s_or_b32 exec_lo, exec_lo, s18
.LBB0_938:                              ;   in Loop: Header=BB0_799 Depth=2
	s_delay_alu instid0(SALU_CYCLE_1)
	s_or_b32 exec_lo, exec_lo, s17
.LBB0_939:                              ;   in Loop: Header=BB0_799 Depth=2
	s_delay_alu instid0(SALU_CYCLE_1) | instskip(NEXT) | instid1(VALU_DEP_1)
	s_or_b32 exec_lo, exec_lo, s7
	v_dual_mul_f32 v118, v30, v118 :: v_dual_mov_b32 v41, v65
                                        ; implicit-def: $vgpr45
	s_mov_b32 s7, exec_lo
	s_delay_alu instid0(VALU_DEP_1) | instskip(SKIP_1) | instid1(VALU_DEP_2)
	v_and_b32_e32 v40, 0x7f800000, v118
	v_lshrrev_b32_e32 v119, 24, v118
	v_cmpx_ne_u64_e32 0x7f800000, v[40:41]
	s_xor_b32 s17, exec_lo, s7
	s_cbranch_execz .LBB0_953
; %bb.940:                              ;   in Loop: Header=BB0_799 Depth=2
	v_and_b32_e32 v40, 0x7fffffff, v118
	v_mov_b32_e32 v41, v65
	v_and_b32_e32 v46, 0x80, v119
                                        ; implicit-def: $vgpr45
	s_mov_b32 s7, exec_lo
	s_delay_alu instid0(VALU_DEP_2)
	v_cmpx_gt_u64_e32 0x43e00001, v[40:41]
	s_xor_b32 s18, exec_lo, s7
	s_cbranch_execz .LBB0_950
; %bb.941:                              ;   in Loop: Header=BB0_799 Depth=2
	v_mov_b32_e32 v45, 0
	s_mov_b32 s19, exec_lo
	v_cmpx_ne_u32_e32 0, v118
	s_cbranch_execz .LBB0_949
; %bb.942:                              ;   in Loop: Header=BB0_799 Depth=2
	v_bfe_u32 v45, v118, 23, 8
	v_and_b32_e32 v119, 0x7fffff, v118
	s_delay_alu instid0(VALU_DEP_2) | instskip(SKIP_2) | instid1(VALU_DEP_4)
	v_cmp_gt_u32_e64 s7, 0x7a, v45
	v_sub_nc_u32_e32 v118, 0x79, v45
	v_cmp_eq_u32_e32 vcc_lo, 0, v45
	v_or_b32_e32 v40, 0x800000, v119
	s_delay_alu instid0(VALU_DEP_3) | instskip(NEXT) | instid1(VALU_DEP_1)
	v_cndmask_b32_e64 v118, 0, v118, s7
	v_cndmask_b32_e64 v47, v118, 0x78, vcc_lo
	s_delay_alu instid0(VALU_DEP_3) | instskip(NEXT) | instid1(VALU_DEP_2)
	v_dual_cndmask_b32 v118, v40, v119 :: v_dual_mov_b32 v119, v65
	v_dual_add_nc_u32 v40, 20, v47 :: v_dual_add_nc_u32 v61, 19, v47
	s_delay_alu instid0(VALU_DEP_1) | instskip(NEXT) | instid1(VALU_DEP_2)
	v_lshlrev_b64_e64 v[40:41], v40, -1
	v_lshlrev_b64_e64 v[62:63], v61, 1
	s_delay_alu instid0(VALU_DEP_2) | instskip(SKIP_1) | instid1(VALU_DEP_4)
	v_bfi_b32 v40, v40, 0, v118
	v_lshrrev_b64 v[118:119], v47, v[118:119]
	v_bfi_b32 v41, v41, 0, 0
	s_delay_alu instid0(VALU_DEP_1) | instskip(NEXT) | instid1(VALU_DEP_3)
	v_cmp_eq_u64_e64 s7, v[40:41], v[62:63]
	v_mov_b64_e32 v[40:41], v[118:119]
	s_and_saveexec_b32 s20, s7
; %bb.943:                              ;   in Loop: Header=BB0_799 Depth=2
	v_bfe_u32 v40, v118, 20, 1
	v_mov_b32_e32 v41, v65
	s_delay_alu instid0(VALU_DEP_1) | instskip(NEXT) | instid1(VALU_DEP_1)
	v_add_nc_u64_e32 v[40:41], v[118:119], v[40:41]
	v_add_nc_u64_e32 v[40:41], -1, v[40:41]
; %bb.944:                              ;   in Loop: Header=BB0_799 Depth=2
	s_or_b32 exec_lo, exec_lo, s20
	v_add_nc_u32_e32 v119, 0xffffff81, v45
	v_lshrrev_b32_e32 v41, 23, v118
	s_mov_b32 s7, exec_lo
	s_delay_alu instid0(VALU_DEP_2) | instskip(NEXT) | instid1(VALU_DEP_1)
	v_cndmask_b32_e64 v119, v119, 0xffffff82, vcc_lo
	v_add3_u32 v41, v47, v119, v41
	v_and_b32_e32 v119, 0xfffff, v40
                                        ; implicit-def: $vgpr40
	s_delay_alu instid0(VALU_DEP_1) | instskip(SKIP_1) | instid1(VALU_DEP_2)
	v_dual_add_nc_u32 v45, 6, v41 :: v_dual_add_nc_u32 v118, v119, v118
	v_mov_b32_e32 v119, v65
	v_cmpx_ne_u32_e32 0, v45
	s_xor_b32 s7, exec_lo, s7
; %bb.945:                              ;   in Loop: Header=BB0_799 Depth=2
	s_delay_alu instid0(VALU_DEP_2) | instskip(SKIP_2) | instid1(VALU_DEP_2)
	v_cmp_lt_u64_e32 vcc_lo, 0xffffff, v[118:119]
	v_add_nc_u32_e32 v40, 7, v41
	v_cndmask_b32_e64 v41, 0, 1, vcc_lo
	v_cndmask_b32_e32 v40, v45, v40, vcc_lo
	s_delay_alu instid0(VALU_DEP_2)
	v_lshrrev_b64 v[118:119], v41, v[118:119]
; %bb.946:                              ;   in Loop: Header=BB0_799 Depth=2
	s_and_not1_saveexec_b32 s7, s7
; %bb.947:                              ;   in Loop: Header=BB0_799 Depth=2
	s_delay_alu instid0(VALU_DEP_1)
	v_bfe_u32 v40, v118, 23, 1
; %bb.948:                              ;   in Loop: Header=BB0_799 Depth=2
	s_or_b32 exec_lo, exec_lo, s7
	s_delay_alu instid0(VALU_DEP_2) | instskip(NEXT) | instid1(VALU_DEP_2)
	v_lshrrev_b64 v[118:119], 20, v[118:119]
	v_cmp_gt_i32_e32 vcc_lo, 16, v40
	v_min_i32_e32 v41, 15, v40
	v_cmp_eq_u32_e64 s7, 0, v40
	s_delay_alu instid0(VALU_DEP_2) | instskip(SKIP_1) | instid1(VALU_DEP_2)
	v_dual_cndmask_b32 v119, 0, v119, vcc_lo :: v_dual_lshlrev_b32 v41, 3, v41
	v_cndmask_b32_e32 v118, 7, v118, vcc_lo
	v_and_b32_e32 v41, 0xf8, v41
	s_delay_alu instid0(VALU_DEP_2) | instskip(NEXT) | instid1(VALU_DEP_2)
	v_cmp_eq_u64_e32 vcc_lo, 0, v[118:119]
	v_and_or_b32 v118, v118, 7, v41
	s_and_b32 s7, s7, vcc_lo
	s_delay_alu instid0(VALU_DEP_1) | instid1(SALU_CYCLE_1)
	v_cndmask_b32_e64 v118, v118, 0, s7
	s_delay_alu instid0(VALU_DEP_1)
	v_or_b32_e32 v45, v118, v46
.LBB0_949:                              ;   in Loop: Header=BB0_799 Depth=2
	s_or_b32 exec_lo, exec_lo, s19
                                        ; implicit-def: $vgpr46
.LBB0_950:                              ;   in Loop: Header=BB0_799 Depth=2
	s_and_not1_saveexec_b32 s7, s18
; %bb.951:                              ;   in Loop: Header=BB0_799 Depth=2
	v_or_b32_e32 v45, 0x7e, v46
; %bb.952:                              ;   in Loop: Header=BB0_799 Depth=2
	s_or_b32 exec_lo, exec_lo, s7
                                        ; implicit-def: $vgpr119
.LBB0_953:                              ;   in Loop: Header=BB0_799 Depth=2
	s_and_not1_saveexec_b32 s7, s17
; %bb.954:                              ;   in Loop: Header=BB0_799 Depth=2
	v_or_b32_e32 v45, 0x7f, v119
; %bb.955:                              ;   in Loop: Header=BB0_799 Depth=2
	s_or_b32 exec_lo, exec_lo, s7
	v_dual_lshrrev_b32 v40, 16, v64 :: v_dual_mov_b32 v118, 0
	s_mov_b32 s7, exec_lo
	s_delay_alu instid0(VALU_DEP_1) | instskip(NEXT) | instid1(VALU_DEP_1)
	v_and_b32_e32 v119, 0xff, v40
	v_cmpx_ne_u16_e32 0, v119
	s_cbranch_execz .LBB0_963
; %bb.956:                              ;   in Loop: Header=BB0_799 Depth=2
	v_bfrev_b32_e32 v118, 1
	s_mov_b32 s17, exec_lo
	v_cmpx_ne_u16_e32 0x80, v119
	s_cbranch_execz .LBB0_962
; %bb.957:                              ;   in Loop: Header=BB0_799 Depth=2
	v_bfe_u32 v46, v64, 16, 7
	v_mov_b32_e32 v118, 0x7f800001
	s_mov_b32 s18, exec_lo
	s_delay_alu instid0(VALU_DEP_2)
	v_cmpx_ne_u32_e32 0x7f, v46
	s_cbranch_execz .LBB0_961
; %bb.958:                              ;   in Loop: Header=BB0_799 Depth=2
	v_dual_mov_b32 v119, v65 :: v_dual_bitop2_b32 v118, 7, v40 bitop3:0x40
	v_lshrrev_b32_e32 v41, 3, v46
	s_mov_b32 s19, exec_lo
	v_cmpx_gt_u32_e32 8, v46
; %bb.959:                              ;   in Loop: Header=BB0_799 Depth=2
	s_delay_alu instid0(VALU_DEP_3) | instskip(NEXT) | instid1(VALU_DEP_1)
	v_clz_i32_u32_e32 v41, v118
	v_min_u32_e32 v41, 32, v41
	s_delay_alu instid0(VALU_DEP_1) | instskip(NEXT) | instid1(VALU_DEP_1)
	v_subrev_nc_u32_e32 v46, 28, v41
	v_lshlrev_b64_e32 v[118:119], v46, v[118:119]
	s_delay_alu instid0(VALU_DEP_1)
	v_dual_sub_nc_u32 v41, 29, v41 :: v_dual_bitop2_b32 v118, 7, v118 bitop3:0x40
; %bb.960:                              ;   in Loop: Header=BB0_799 Depth=2
	s_or_b32 exec_lo, exec_lo, s19
	s_delay_alu instid0(VALU_DEP_1) | instskip(NEXT) | instid1(VALU_DEP_2)
	v_dual_lshlrev_b32 v119, 24, v40 :: v_dual_lshlrev_b32 v118, 20, v118
	v_lshl_add_u32 v40, v41, 23, 0x3c000000
	s_delay_alu instid0(VALU_DEP_2) | instskip(NEXT) | instid1(VALU_DEP_1)
	v_and_b32_e32 v119, 0x80000000, v119
	v_or3_b32 v118, v118, v119, v40
.LBB0_961:                              ;   in Loop: Header=BB0_799 Depth=2
	s_or_b32 exec_lo, exec_lo, s18
.LBB0_962:                              ;   in Loop: Header=BB0_799 Depth=2
	s_delay_alu instid0(SALU_CYCLE_1)
	s_or_b32 exec_lo, exec_lo, s17
.LBB0_963:                              ;   in Loop: Header=BB0_799 Depth=2
	s_delay_alu instid0(SALU_CYCLE_1) | instskip(NEXT) | instid1(VALU_DEP_1)
	s_or_b32 exec_lo, exec_lo, s7
	v_dual_mul_f32 v118, v30, v118 :: v_dual_mov_b32 v41, v65
                                        ; implicit-def: $vgpr46
	s_mov_b32 s7, exec_lo
	s_delay_alu instid0(VALU_DEP_1) | instskip(SKIP_1) | instid1(VALU_DEP_2)
	v_and_b32_e32 v40, 0x7f800000, v118
	v_lshrrev_b32_e32 v119, 24, v118
	v_cmpx_ne_u64_e32 0x7f800000, v[40:41]
	s_xor_b32 s17, exec_lo, s7
	s_cbranch_execz .LBB0_977
; %bb.964:                              ;   in Loop: Header=BB0_799 Depth=2
	v_and_b32_e32 v40, 0x7fffffff, v118
	v_mov_b32_e32 v41, v65
	v_and_b32_e32 v47, 0x80, v119
                                        ; implicit-def: $vgpr46
	s_mov_b32 s7, exec_lo
	s_delay_alu instid0(VALU_DEP_2)
	v_cmpx_gt_u64_e32 0x43e00001, v[40:41]
	s_xor_b32 s18, exec_lo, s7
	s_cbranch_execz .LBB0_974
; %bb.965:                              ;   in Loop: Header=BB0_799 Depth=2
	v_mov_b32_e32 v46, 0
	s_mov_b32 s19, exec_lo
	v_cmpx_ne_u32_e32 0, v118
	s_cbranch_execz .LBB0_973
; %bb.966:                              ;   in Loop: Header=BB0_799 Depth=2
	v_bfe_u32 v46, v118, 23, 8
	v_and_b32_e32 v40, 0x7fffff, v118
	s_mov_b32 s20, exec_lo
	s_delay_alu instid0(VALU_DEP_2) | instskip(SKIP_1) | instid1(VALU_DEP_3)
	v_cmp_gt_u32_e64 s7, 0x7a, v46
	v_cmp_eq_u32_e32 vcc_lo, 0, v46
	v_or_b32_e32 v41, 0x800000, v40
	s_delay_alu instid0(VALU_DEP_1) | instskip(NEXT) | instid1(VALU_DEP_1)
	v_dual_cndmask_b32 v40, v41, v40 :: v_dual_sub_nc_u32 v119, 0x79, v46
	v_dual_cndmask_b32 v119, 0, v119, s7 :: v_dual_mov_b32 v41, v65
	s_delay_alu instid0(VALU_DEP_1) | instskip(NEXT) | instid1(VALU_DEP_1)
	v_cndmask_b32_e64 v61, v119, 0x78, vcc_lo
	v_dual_add_nc_u32 v118, 20, v61 :: v_dual_add_nc_u32 v62, 19, v61
	s_delay_alu instid0(VALU_DEP_1) | instskip(NEXT) | instid1(VALU_DEP_2)
	v_lshlrev_b64_e64 v[118:119], v118, -1
	v_lshlrev_b64_e64 v[62:63], v62, 1
	s_delay_alu instid0(VALU_DEP_2) | instskip(NEXT) | instid1(VALU_DEP_3)
	v_bfi_b32 v73, v119, 0, 0
	v_bfi_b32 v72, v118, 0, v40
	v_lshrrev_b64 v[118:119], v61, v[40:41]
	s_delay_alu instid0(VALU_DEP_1) | instskip(NEXT) | instid1(VALU_DEP_3)
	v_mov_b64_e32 v[40:41], v[118:119]
	v_cmpx_eq_u64_e64 v[72:73], v[62:63]
; %bb.967:                              ;   in Loop: Header=BB0_799 Depth=2
	v_bfe_u32 v40, v118, 20, 1
	v_mov_b32_e32 v41, v65
	s_delay_alu instid0(VALU_DEP_1) | instskip(NEXT) | instid1(VALU_DEP_1)
	v_add_nc_u64_e32 v[40:41], v[118:119], v[40:41]
	v_add_nc_u64_e32 v[40:41], -1, v[40:41]
; %bb.968:                              ;   in Loop: Header=BB0_799 Depth=2
	s_or_b32 exec_lo, exec_lo, s20
	v_add_nc_u32_e32 v119, 0xffffff81, v46
	v_lshrrev_b32_e32 v41, 23, v118
	s_mov_b32 s7, exec_lo
	s_delay_alu instid0(VALU_DEP_2) | instskip(NEXT) | instid1(VALU_DEP_1)
	v_cndmask_b32_e64 v119, v119, 0xffffff82, vcc_lo
	v_add3_u32 v41, v61, v119, v41
	v_and_b32_e32 v119, 0xfffff, v40
                                        ; implicit-def: $vgpr40
	s_delay_alu instid0(VALU_DEP_1) | instskip(SKIP_1) | instid1(VALU_DEP_2)
	v_dual_add_nc_u32 v46, 6, v41 :: v_dual_add_nc_u32 v118, v119, v118
	v_mov_b32_e32 v119, v65
	v_cmpx_ne_u32_e32 0, v46
	s_xor_b32 s7, exec_lo, s7
; %bb.969:                              ;   in Loop: Header=BB0_799 Depth=2
	s_delay_alu instid0(VALU_DEP_2) | instskip(SKIP_2) | instid1(VALU_DEP_2)
	v_cmp_lt_u64_e32 vcc_lo, 0xffffff, v[118:119]
	v_add_nc_u32_e32 v40, 7, v41
	v_cndmask_b32_e64 v41, 0, 1, vcc_lo
	v_cndmask_b32_e32 v40, v46, v40, vcc_lo
	s_delay_alu instid0(VALU_DEP_2)
	v_lshrrev_b64 v[118:119], v41, v[118:119]
; %bb.970:                              ;   in Loop: Header=BB0_799 Depth=2
	s_and_not1_saveexec_b32 s7, s7
; %bb.971:                              ;   in Loop: Header=BB0_799 Depth=2
	s_delay_alu instid0(VALU_DEP_1)
	v_bfe_u32 v40, v118, 23, 1
; %bb.972:                              ;   in Loop: Header=BB0_799 Depth=2
	s_or_b32 exec_lo, exec_lo, s7
	s_delay_alu instid0(VALU_DEP_2) | instskip(NEXT) | instid1(VALU_DEP_2)
	v_lshrrev_b64 v[118:119], 20, v[118:119]
	v_cmp_gt_i32_e32 vcc_lo, 16, v40
	v_min_i32_e32 v41, 15, v40
	v_cmp_eq_u32_e64 s7, 0, v40
	s_delay_alu instid0(VALU_DEP_2) | instskip(SKIP_1) | instid1(VALU_DEP_2)
	v_dual_cndmask_b32 v119, 0, v119, vcc_lo :: v_dual_lshlrev_b32 v41, 3, v41
	v_cndmask_b32_e32 v118, 7, v118, vcc_lo
	v_and_b32_e32 v41, 0xf8, v41
	s_delay_alu instid0(VALU_DEP_2) | instskip(NEXT) | instid1(VALU_DEP_2)
	v_cmp_eq_u64_e32 vcc_lo, 0, v[118:119]
	v_and_or_b32 v118, v118, 7, v41
	s_and_b32 s7, s7, vcc_lo
	s_delay_alu instid0(VALU_DEP_1) | instid1(SALU_CYCLE_1)
	v_cndmask_b32_e64 v118, v118, 0, s7
	s_delay_alu instid0(VALU_DEP_1)
	v_or_b32_e32 v46, v118, v47
.LBB0_973:                              ;   in Loop: Header=BB0_799 Depth=2
	s_or_b32 exec_lo, exec_lo, s19
                                        ; implicit-def: $vgpr47
.LBB0_974:                              ;   in Loop: Header=BB0_799 Depth=2
	s_and_not1_saveexec_b32 s7, s18
; %bb.975:                              ;   in Loop: Header=BB0_799 Depth=2
	v_or_b32_e32 v46, 0x7e, v47
; %bb.976:                              ;   in Loop: Header=BB0_799 Depth=2
	s_or_b32 exec_lo, exec_lo, s7
                                        ; implicit-def: $vgpr119
.LBB0_977:                              ;   in Loop: Header=BB0_799 Depth=2
	s_and_not1_saveexec_b32 s7, s17
; %bb.978:                              ;   in Loop: Header=BB0_799 Depth=2
	v_or_b32_e32 v46, 0x7f, v119
; %bb.979:                              ;   in Loop: Header=BB0_799 Depth=2
	s_or_b32 exec_lo, exec_lo, s7
	v_mov_b32_e32 v119, 0
	s_mov_b32 s7, exec_lo
	v_cmpx_lt_u32_e32 0xffffff, v64
	s_cbranch_execz .LBB0_987
; %bb.980:                              ;   in Loop: Header=BB0_799 Depth=2
	v_lshrrev_b32_e32 v118, 24, v64
	v_bfrev_b32_e32 v119, 1
	s_mov_b32 s17, exec_lo
	s_delay_alu instid0(VALU_DEP_2)
	v_cmpx_ne_u32_e32 0x80, v118
	s_cbranch_execz .LBB0_986
; %bb.981:                              ;   in Loop: Header=BB0_799 Depth=2
	v_bfe_u32 v40, v64, 24, 7
	v_mov_b32_e32 v119, 0x7f800001
	s_mov_b32 s18, exec_lo
	s_delay_alu instid0(VALU_DEP_2)
	v_cmpx_ne_u32_e32 0x7f, v40
	s_cbranch_execz .LBB0_985
; %bb.982:                              ;   in Loop: Header=BB0_799 Depth=2
	v_dual_lshrrev_b32 v119, 3, v40 :: v_dual_bitop2_b32 v64, 7, v118 bitop3:0x40
	s_mov_b32 s19, exec_lo
	v_cmpx_gt_u32_e32 8, v40
; %bb.983:                              ;   in Loop: Header=BB0_799 Depth=2
	s_delay_alu instid0(VALU_DEP_2) | instskip(NEXT) | instid1(VALU_DEP_1)
	v_clz_i32_u32_e32 v119, v64
	v_min_u32_e32 v119, 32, v119
	s_delay_alu instid0(VALU_DEP_1) | instskip(NEXT) | instid1(VALU_DEP_1)
	v_subrev_nc_u32_e32 v40, 28, v119
	v_lshlrev_b64_e32 v[40:41], v40, v[64:65]
	s_delay_alu instid0(VALU_DEP_1)
	v_dual_sub_nc_u32 v119, 29, v119 :: v_dual_bitop2_b32 v64, 7, v40 bitop3:0x40
; %bb.984:                              ;   in Loop: Header=BB0_799 Depth=2
	s_or_b32 exec_lo, exec_lo, s19
	s_delay_alu instid0(VALU_DEP_1) | instskip(NEXT) | instid1(VALU_DEP_2)
	v_dual_lshlrev_b32 v118, 24, v118 :: v_dual_lshlrev_b32 v64, 20, v64
	v_lshl_add_u32 v119, v119, 23, 0x3c000000
	s_delay_alu instid0(VALU_DEP_2) | instskip(NEXT) | instid1(VALU_DEP_1)
	v_and_b32_e32 v118, 0x80000000, v118
	v_or3_b32 v119, v64, v118, v119
.LBB0_985:                              ;   in Loop: Header=BB0_799 Depth=2
	s_or_b32 exec_lo, exec_lo, s18
.LBB0_986:                              ;   in Loop: Header=BB0_799 Depth=2
	s_delay_alu instid0(SALU_CYCLE_1)
	s_or_b32 exec_lo, exec_lo, s17
.LBB0_987:                              ;   in Loop: Header=BB0_799 Depth=2
	s_delay_alu instid0(SALU_CYCLE_1) | instskip(NEXT) | instid1(VALU_DEP_1)
	s_or_b32 exec_lo, exec_lo, s7
	v_mul_f32_e32 v118, v30, v119
                                        ; implicit-def: $vgpr47
	s_mov_b32 s7, exec_lo
	s_delay_alu instid0(VALU_DEP_1) | instskip(SKIP_1) | instid1(VALU_DEP_2)
	v_and_b32_e32 v64, 0x7f800000, v118
	v_lshrrev_b32_e32 v119, 24, v118
	v_cmpx_ne_u64_e32 0x7f800000, v[64:65]
	s_xor_b32 s17, exec_lo, s7
	s_cbranch_execz .LBB0_1001
; %bb.988:                              ;   in Loop: Header=BB0_799 Depth=2
	v_and_b32_e32 v64, 0x7fffffff, v118
	v_and_b32_e32 v61, 0x80, v119
                                        ; implicit-def: $vgpr47
	s_mov_b32 s7, exec_lo
	s_delay_alu instid0(VALU_DEP_2)
	v_cmpx_gt_u64_e32 0x43e00001, v[64:65]
	s_xor_b32 s18, exec_lo, s7
	s_cbranch_execz .LBB0_998
; %bb.989:                              ;   in Loop: Header=BB0_799 Depth=2
	v_mov_b32_e32 v47, 0
	s_mov_b32 s19, exec_lo
	v_cmpx_ne_u32_e32 0, v118
	s_cbranch_execz .LBB0_997
; %bb.990:                              ;   in Loop: Header=BB0_799 Depth=2
	v_bfe_u32 v47, v118, 23, 8
	s_delay_alu instid0(VALU_DEP_1) | instskip(SKIP_1) | instid1(VALU_DEP_2)
	v_sub_nc_u32_e32 v64, 0x79, v47
	v_cmp_gt_u32_e32 vcc_lo, 0x7a, v47
	v_cndmask_b32_e32 v64, 0, v64, vcc_lo
	v_cmp_eq_u32_e32 vcc_lo, 0, v47
	s_delay_alu instid0(VALU_DEP_2) | instskip(SKIP_1) | instid1(VALU_DEP_2)
	v_cndmask_b32_e64 v62, v64, 0x78, vcc_lo
	v_and_b32_e32 v64, 0x7fffff, v118
	v_add_nc_u32_e32 v118, 20, v62
	s_delay_alu instid0(VALU_DEP_2) | instskip(SKIP_1) | instid1(VALU_DEP_3)
	v_or_b32_e32 v40, 0x800000, v64
	v_add_nc_u32_e32 v41, 19, v62
	v_lshlrev_b64_e64 v[118:119], v118, -1
	s_delay_alu instid0(VALU_DEP_3) | instskip(NEXT) | instid1(VALU_DEP_3)
	v_cndmask_b32_e32 v64, v40, v64, vcc_lo
	v_lshlrev_b64_e64 v[40:41], v41, 1
	s_delay_alu instid0(VALU_DEP_3) | instskip(NEXT) | instid1(VALU_DEP_3)
	v_bfi_b32 v73, v119, 0, 0
	v_bfi_b32 v72, v118, 0, v64
	v_lshrrev_b64 v[118:119], v62, v[64:65]
	s_delay_alu instid0(VALU_DEP_2) | instskip(NEXT) | instid1(VALU_DEP_2)
	v_cmp_eq_u64_e64 s7, v[72:73], v[40:41]
	v_mov_b64_e32 v[40:41], v[118:119]
	s_and_saveexec_b32 s20, s7
; %bb.991:                              ;   in Loop: Header=BB0_799 Depth=2
	v_bfe_u32 v64, v118, 20, 1
	s_delay_alu instid0(VALU_DEP_1) | instskip(NEXT) | instid1(VALU_DEP_1)
	v_add_nc_u64_e32 v[40:41], v[118:119], v[64:65]
	v_add_nc_u64_e32 v[40:41], -1, v[40:41]
; %bb.992:                              ;   in Loop: Header=BB0_799 Depth=2
	s_or_b32 exec_lo, exec_lo, s20
	v_add_nc_u32_e32 v64, 0xffffff81, v47
	v_lshrrev_b32_e32 v119, 23, v118
	s_mov_b32 s7, exec_lo
	s_delay_alu instid0(VALU_DEP_2) | instskip(NEXT) | instid1(VALU_DEP_1)
	v_cndmask_b32_e64 v64, v64, 0xffffff82, vcc_lo
	v_add3_u32 v41, v62, v64, v119
	v_and_b32_e32 v64, 0xfffff, v40
                                        ; implicit-def: $vgpr40
	s_delay_alu instid0(VALU_DEP_1) | instskip(NEXT) | instid1(VALU_DEP_1)
	v_dual_add_nc_u32 v47, 6, v41 :: v_dual_add_nc_u32 v64, v64, v118
                                        ; implicit-def: $vgpr118_vgpr119
	v_cmpx_ne_u32_e32 0, v47
	s_xor_b32 s7, exec_lo, s7
; %bb.993:                              ;   in Loop: Header=BB0_799 Depth=2
	s_delay_alu instid0(VALU_DEP_2) | instskip(SKIP_1) | instid1(VALU_DEP_1)
	v_cmp_lt_u64_e32 vcc_lo, 0xffffff, v[64:65]
	v_add_nc_u32_e32 v118, 7, v41
	v_cndmask_b32_e32 v40, v47, v118, vcc_lo
	v_cndmask_b32_e64 v118, 0, 1, vcc_lo
	s_delay_alu instid0(VALU_DEP_1)
	v_lshrrev_b64 v[118:119], v118, v[64:65]
; %bb.994:                              ;   in Loop: Header=BB0_799 Depth=2
	s_and_not1_saveexec_b32 s7, s7
; %bb.995:                              ;   in Loop: Header=BB0_799 Depth=2
	v_mov_b64_e32 v[118:119], v[64:65]
	v_bfe_u32 v40, v64, 23, 1
; %bb.996:                              ;   in Loop: Header=BB0_799 Depth=2
	s_or_b32 exec_lo, exec_lo, s7
	s_delay_alu instid0(VALU_DEP_2) | instskip(NEXT) | instid1(VALU_DEP_2)
	v_lshrrev_b64 v[118:119], 20, v[118:119]
	v_cmp_gt_i32_e32 vcc_lo, 16, v40
	v_min_i32_e32 v64, 15, v40
	v_cmp_eq_u32_e64 s7, 0, v40
	s_delay_alu instid0(VALU_DEP_2) | instskip(SKIP_1) | instid1(VALU_DEP_2)
	v_dual_cndmask_b32 v119, 0, v119 :: v_dual_lshlrev_b32 v64, 3, v64
	v_cndmask_b32_e32 v118, 7, v118, vcc_lo
	v_and_b32_e32 v64, 0xf8, v64
	s_delay_alu instid0(VALU_DEP_2) | instskip(NEXT) | instid1(VALU_DEP_2)
	v_cmp_eq_u64_e32 vcc_lo, 0, v[118:119]
	v_and_or_b32 v64, v118, 7, v64
	s_and_b32 s7, s7, vcc_lo
	s_delay_alu instid0(VALU_DEP_1) | instid1(SALU_CYCLE_1)
	v_cndmask_b32_e64 v64, v64, 0, s7
	s_delay_alu instid0(VALU_DEP_1)
	v_or_b32_e32 v47, v64, v61
.LBB0_997:                              ;   in Loop: Header=BB0_799 Depth=2
	s_or_b32 exec_lo, exec_lo, s19
                                        ; implicit-def: $vgpr61
.LBB0_998:                              ;   in Loop: Header=BB0_799 Depth=2
	s_and_not1_saveexec_b32 s7, s18
; %bb.999:                              ;   in Loop: Header=BB0_799 Depth=2
	v_or_b32_e32 v47, 0x7e, v61
; %bb.1000:                             ;   in Loop: Header=BB0_799 Depth=2
	s_or_b32 exec_lo, exec_lo, s7
                                        ; implicit-def: $vgpr119
.LBB0_1001:                             ;   in Loop: Header=BB0_799 Depth=2
	s_and_not1_saveexec_b32 s7, s17
; %bb.1002:                             ;   in Loop: Header=BB0_799 Depth=2
	v_or_b32_e32 v47, 0x7f, v119
; %bb.1003:                             ;   in Loop: Header=BB0_799 Depth=2
	s_or_b32 exec_lo, exec_lo, s7
	s_wait_loadcnt 0x0
	v_and_b32_e32 v64, 0xff, v2
	v_dual_mov_b32 v118, 0 :: v_dual_mov_b32 v119, 0
	s_mov_b32 s7, exec_lo
	s_delay_alu instid0(VALU_DEP_2)
	v_cmpx_ne_u16_e32 0, v64
	s_cbranch_execz .LBB0_1009
; %bb.1004:                             ;   in Loop: Header=BB0_799 Depth=2
	v_bfrev_b32_e32 v119, 1
	s_mov_b32 s17, exec_lo
	v_cmpx_ne_u16_e32 0x80, v64
	s_cbranch_execz .LBB0_1008
; %bb.1005:                             ;   in Loop: Header=BB0_799 Depth=2
	v_and_b32_e32 v64, 0x7f, v2
	v_mov_b32_e32 v119, 0x7f800001
	s_mov_b32 s18, exec_lo
	s_delay_alu instid0(VALU_DEP_2)
	v_cmpx_ne_u32_e32 0x7f, v64
	s_cbranch_execz .LBB0_1007
; %bb.1006:                             ;   in Loop: Header=BB0_799 Depth=2
	v_dual_lshrrev_b32 v40, 3, v64 :: v_dual_bitop2_b32 v119, 7, v2 bitop3:0x40
	v_cmp_gt_u32_e32 vcc_lo, 8, v64
	s_delay_alu instid0(VALU_DEP_2) | instskip(NEXT) | instid1(VALU_DEP_1)
	v_clz_i32_u32_e32 v119, v119
	v_min_u32_e32 v119, 32, v119
	s_delay_alu instid0(VALU_DEP_1) | instskip(SKIP_1) | instid1(VALU_DEP_1)
	v_subrev_nc_u32_e32 v41, 28, v119
	v_sub_nc_u32_e32 v119, 29, v119
	v_dual_cndmask_b32 v64, v40, v119 :: v_dual_cndmask_b32 v119, 0, v41
	s_delay_alu instid0(VALU_DEP_1) | instskip(NEXT) | instid1(VALU_DEP_2)
	v_lshl_add_u32 v64, v64, 23, 0x3c000000
	v_lshlrev_b64_e32 v[40:41], v119, v[2:3]
	v_lshlrev_b32_e32 v3, 24, v2
	s_delay_alu instid0(VALU_DEP_1) | instskip(NEXT) | instid1(VALU_DEP_3)
	v_and_b32_e32 v3, 0x80000000, v3
	v_lshlrev_b32_e32 v119, 20, v40
	s_delay_alu instid0(VALU_DEP_1) | instskip(NEXT) | instid1(VALU_DEP_1)
	v_and_b32_e32 v119, 0x700000, v119
	v_or3_b32 v119, v119, v3, v64
.LBB0_1007:                             ;   in Loop: Header=BB0_799 Depth=2
	s_or_b32 exec_lo, exec_lo, s18
.LBB0_1008:                             ;   in Loop: Header=BB0_799 Depth=2
	s_delay_alu instid0(SALU_CYCLE_1)
	s_or_b32 exec_lo, exec_lo, s17
.LBB0_1009:                             ;   in Loop: Header=BB0_799 Depth=2
	s_delay_alu instid0(SALU_CYCLE_1) | instskip(SKIP_3) | instid1(VALU_DEP_1)
	s_or_b32 exec_lo, exec_lo, s7
	v_lshl_or_b32 v3, v44, 8, v117
	v_dual_lshlrev_b32 v64, 16, v59 :: v_dual_lshlrev_b32 v40, 24, v60
	s_mov_b32 s7, exec_lo
	v_or3_b32 v64, v64, v40, v3
	v_cmpx_ne_u32_e32 0, v117
	s_cbranch_execz .LBB0_1015
; %bb.1010:                             ;   in Loop: Header=BB0_799 Depth=2
	v_bfrev_b32_e32 v118, 1
	s_mov_b32 s17, exec_lo
	v_cmpx_ne_u32_e32 0x80, v117
	s_cbranch_execz .LBB0_1014
; %bb.1011:                             ;   in Loop: Header=BB0_799 Depth=2
	v_and_b32_e32 v40, 0x7f, v117
	v_mov_b32_e32 v118, 0x7f800001
	s_mov_b32 s18, exec_lo
	s_delay_alu instid0(VALU_DEP_2)
	v_cmpx_ne_u32_e32 0x7f, v40
	s_cbranch_execz .LBB0_1013
; %bb.1012:                             ;   in Loop: Header=BB0_799 Depth=2
	v_dual_lshrrev_b32 v118, 3, v40 :: v_dual_bitop2_b32 v117, 7, v117 bitop3:0x40
	v_cmp_gt_u32_e32 vcc_lo, 8, v40
	s_delay_alu instid0(VALU_DEP_2) | instskip(NEXT) | instid1(VALU_DEP_1)
	v_clz_i32_u32_e32 v117, v117
	v_min_u32_e32 v117, 32, v117
	s_delay_alu instid0(VALU_DEP_1) | instskip(SKIP_1) | instid1(VALU_DEP_1)
	v_subrev_nc_u32_e32 v41, 28, v117
	v_sub_nc_u32_e32 v117, 29, v117
	v_cndmask_b32_e32 v117, v118, v117, vcc_lo
	s_delay_alu instid0(VALU_DEP_3) | instskip(NEXT) | instid1(VALU_DEP_1)
	v_cndmask_b32_e32 v118, 0, v41, vcc_lo
	v_lshlrev_b64_e32 v[40:41], v118, v[64:65]
	v_lshlrev_b32_e32 v118, 24, v64
	s_delay_alu instid0(VALU_DEP_1) | instskip(NEXT) | instid1(VALU_DEP_3)
	v_and_b32_e32 v118, 0x80000000, v118
	v_lshlrev_b32_e32 v40, 20, v40
	v_lshl_add_u32 v117, v117, 23, 0x3c000000
	s_delay_alu instid0(VALU_DEP_2) | instskip(NEXT) | instid1(VALU_DEP_1)
	v_and_b32_e32 v40, 0x700000, v40
	v_or3_b32 v118, v40, v118, v117
.LBB0_1013:                             ;   in Loop: Header=BB0_799 Depth=2
	s_or_b32 exec_lo, exec_lo, s18
.LBB0_1014:                             ;   in Loop: Header=BB0_799 Depth=2
	s_delay_alu instid0(SALU_CYCLE_1)
	s_or_b32 exec_lo, exec_lo, s17
.LBB0_1015:                             ;   in Loop: Header=BB0_799 Depth=2
	s_delay_alu instid0(SALU_CYCLE_1) | instskip(NEXT) | instid1(VALU_DEP_1)
	s_or_b32 exec_lo, exec_lo, s7
	v_dual_add_f32 v118, v119, v118 :: v_dual_mov_b32 v41, v65
                                        ; implicit-def: $vgpr117
	s_mov_b32 s7, exec_lo
	s_delay_alu instid0(VALU_DEP_1) | instskip(SKIP_1) | instid1(VALU_DEP_2)
	v_and_b32_e32 v40, 0x7f800000, v118
	v_lshrrev_b32_e32 v119, 24, v118
	v_cmpx_ne_u64_e32 0x7f800000, v[40:41]
	s_xor_b32 s17, exec_lo, s7
	s_cbranch_execz .LBB0_1029
; %bb.1016:                             ;   in Loop: Header=BB0_799 Depth=2
	v_and_b32_e32 v40, 0x7fffffff, v118
	v_mov_b32_e32 v41, v65
	v_and_b32_e32 v44, 0x80, v119
                                        ; implicit-def: $vgpr117
	s_mov_b32 s7, exec_lo
	s_delay_alu instid0(VALU_DEP_2)
	v_cmpx_gt_u64_e32 0x43e00001, v[40:41]
	s_xor_b32 s18, exec_lo, s7
	s_cbranch_execz .LBB0_1026
; %bb.1017:                             ;   in Loop: Header=BB0_799 Depth=2
	v_mov_b32_e32 v117, 0
	s_mov_b32 s19, exec_lo
	v_cmpx_ne_u32_e32 0, v118
	s_cbranch_execz .LBB0_1025
; %bb.1018:                             ;   in Loop: Header=BB0_799 Depth=2
	v_bfe_u32 v117, v118, 23, 8
	v_and_b32_e32 v40, 0x7fffff, v118
	s_mov_b32 s20, exec_lo
	s_delay_alu instid0(VALU_DEP_2) | instskip(NEXT) | instid1(VALU_DEP_2)
	v_cmp_gt_u32_e32 vcc_lo, 0x7a, v117
	v_or_b32_e32 v41, 0x800000, v40
	v_sub_nc_u32_e32 v119, 0x79, v117
	s_delay_alu instid0(VALU_DEP_1) | instskip(SKIP_1) | instid1(VALU_DEP_4)
	v_cndmask_b32_e32 v119, 0, v119, vcc_lo
	v_cmp_eq_u32_e32 vcc_lo, 0, v117
	v_cndmask_b32_e32 v40, v41, v40, vcc_lo
	v_mov_b32_e32 v41, v65
	s_delay_alu instid0(VALU_DEP_4) | instskip(NEXT) | instid1(VALU_DEP_1)
	v_cndmask_b32_e64 v59, v119, 0x78, vcc_lo
	v_dual_add_nc_u32 v118, 20, v59 :: v_dual_add_nc_u32 v60, 19, v59
	s_delay_alu instid0(VALU_DEP_1) | instskip(NEXT) | instid1(VALU_DEP_2)
	v_lshlrev_b64_e64 v[118:119], v118, -1
	v_lshlrev_b64_e64 v[60:61], v60, 1
	s_delay_alu instid0(VALU_DEP_2) | instskip(NEXT) | instid1(VALU_DEP_3)
	v_bfi_b32 v63, v119, 0, 0
	v_bfi_b32 v62, v118, 0, v40
	v_lshrrev_b64 v[118:119], v59, v[40:41]
	s_delay_alu instid0(VALU_DEP_1) | instskip(NEXT) | instid1(VALU_DEP_3)
	v_mov_b64_e32 v[40:41], v[118:119]
	v_cmpx_eq_u64_e64 v[62:63], v[60:61]
; %bb.1019:                             ;   in Loop: Header=BB0_799 Depth=2
	v_bfe_u32 v40, v118, 20, 1
	v_mov_b32_e32 v41, v65
	s_delay_alu instid0(VALU_DEP_1) | instskip(NEXT) | instid1(VALU_DEP_1)
	v_add_nc_u64_e32 v[40:41], v[118:119], v[40:41]
	v_add_nc_u64_e32 v[40:41], -1, v[40:41]
; %bb.1020:                             ;   in Loop: Header=BB0_799 Depth=2
	s_or_b32 exec_lo, exec_lo, s20
	v_add_nc_u32_e32 v117, 0xffffff81, v117
	v_lshrrev_b32_e32 v119, 23, v118
	s_mov_b32 s7, exec_lo
	s_delay_alu instid0(VALU_DEP_2) | instskip(NEXT) | instid1(VALU_DEP_1)
	v_cndmask_b32_e64 v117, v117, 0xffffff82, vcc_lo
	v_add3_u32 v41, v59, v117, v119
	v_and_b32_e32 v117, 0xfffff, v40
	s_delay_alu instid0(VALU_DEP_2) | instskip(NEXT) | instid1(VALU_DEP_2)
	v_dual_mov_b32 v119, v65 :: v_dual_add_nc_u32 v40, 6, v41
	v_add_nc_u32_e32 v118, v117, v118
                                        ; implicit-def: $vgpr117
	s_delay_alu instid0(VALU_DEP_2)
	v_cmpx_ne_u32_e32 0, v40
	s_xor_b32 s7, exec_lo, s7
; %bb.1021:                             ;   in Loop: Header=BB0_799 Depth=2
	s_delay_alu instid0(VALU_DEP_2) | instskip(SKIP_1) | instid1(VALU_DEP_1)
	v_cmp_lt_u64_e32 vcc_lo, 0xffffff, v[118:119]
	v_add_nc_u32_e32 v117, 7, v41
	v_cndmask_b32_e32 v117, v40, v117, vcc_lo
	v_cndmask_b32_e64 v40, 0, 1, vcc_lo
	s_delay_alu instid0(VALU_DEP_1)
	v_lshrrev_b64 v[118:119], v40, v[118:119]
; %bb.1022:                             ;   in Loop: Header=BB0_799 Depth=2
	s_and_not1_saveexec_b32 s7, s7
; %bb.1023:                             ;   in Loop: Header=BB0_799 Depth=2
	s_delay_alu instid0(VALU_DEP_1)
	v_bfe_u32 v117, v118, 23, 1
; %bb.1024:                             ;   in Loop: Header=BB0_799 Depth=2
	s_or_b32 exec_lo, exec_lo, s7
	s_delay_alu instid0(VALU_DEP_2) | instskip(NEXT) | instid1(VALU_DEP_2)
	v_lshrrev_b64 v[118:119], 20, v[118:119]
	v_cmp_gt_i32_e32 vcc_lo, 16, v117
	v_min_i32_e32 v40, 15, v117
	v_cmp_eq_u32_e64 s7, 0, v117
	s_delay_alu instid0(VALU_DEP_2) | instskip(SKIP_1) | instid1(VALU_DEP_2)
	v_dual_cndmask_b32 v119, 0, v119 :: v_dual_lshlrev_b32 v40, 3, v40
	v_cndmask_b32_e32 v118, 7, v118, vcc_lo
	v_and_b32_e32 v40, 0xf8, v40
	s_delay_alu instid0(VALU_DEP_2) | instskip(NEXT) | instid1(VALU_DEP_2)
	v_cmp_eq_u64_e32 vcc_lo, 0, v[118:119]
	v_and_or_b32 v117, v118, 7, v40
	s_and_b32 s7, s7, vcc_lo
	s_delay_alu instid0(VALU_DEP_1) | instid1(SALU_CYCLE_1)
	v_cndmask_b32_e64 v117, v117, 0, s7
	s_delay_alu instid0(VALU_DEP_1)
	v_or_b32_e32 v117, v117, v44
.LBB0_1025:                             ;   in Loop: Header=BB0_799 Depth=2
	s_or_b32 exec_lo, exec_lo, s19
                                        ; implicit-def: $vgpr44
.LBB0_1026:                             ;   in Loop: Header=BB0_799 Depth=2
	s_and_not1_saveexec_b32 s7, s18
; %bb.1027:                             ;   in Loop: Header=BB0_799 Depth=2
	v_or_b32_e32 v117, 0x7e, v44
; %bb.1028:                             ;   in Loop: Header=BB0_799 Depth=2
	s_or_b32 exec_lo, exec_lo, s7
                                        ; implicit-def: $vgpr119
.LBB0_1029:                             ;   in Loop: Header=BB0_799 Depth=2
	s_and_not1_saveexec_b32 s7, s17
; %bb.1030:                             ;   in Loop: Header=BB0_799 Depth=2
	v_or_b32_e32 v117, 0x7f, v119
; %bb.1031:                             ;   in Loop: Header=BB0_799 Depth=2
	s_or_b32 exec_lo, exec_lo, s7
	v_lshrrev_b16 v118, 8, v2
	v_dual_mov_b32 v40, 0 :: v_dual_mov_b32 v41, 0
	s_mov_b32 s7, exec_lo
	s_delay_alu instid0(VALU_DEP_2)
	v_cmpx_ne_u16_e32 0, v118
	s_cbranch_execz .LBB0_1039
; %bb.1032:                             ;   in Loop: Header=BB0_799 Depth=2
	v_bfrev_b32_e32 v41, 1
	s_mov_b32 s17, exec_lo
	v_cmpx_ne_u16_e32 0x80, v118
	s_cbranch_execz .LBB0_1038
; %bb.1033:                             ;   in Loop: Header=BB0_799 Depth=2
	v_and_b32_e32 v118, 0xffff, v118
	v_mov_b32_e32 v41, 0x7f800001
	s_mov_b32 s18, exec_lo
	s_delay_alu instid0(VALU_DEP_2) | instskip(NEXT) | instid1(VALU_DEP_1)
	v_and_b32_e32 v44, 0x7f, v118
	v_cmpx_ne_u32_e32 0x7f, v44
	s_cbranch_execz .LBB0_1037
; %bb.1034:                             ;   in Loop: Header=BB0_799 Depth=2
	v_dual_mov_b32 v119, v65 :: v_dual_bitop2_b32 v118, 7, v118 bitop3:0x40
	v_lshrrev_b32_e32 v41, 3, v44
	s_mov_b32 s19, exec_lo
	v_cmpx_gt_u32_e32 8, v44
; %bb.1035:                             ;   in Loop: Header=BB0_799 Depth=2
	s_delay_alu instid0(VALU_DEP_3) | instskip(NEXT) | instid1(VALU_DEP_1)
	v_clz_i32_u32_e32 v41, v118
	v_min_u32_e32 v41, 32, v41
	s_delay_alu instid0(VALU_DEP_1) | instskip(NEXT) | instid1(VALU_DEP_1)
	v_subrev_nc_u32_e32 v44, 28, v41
	v_lshlrev_b64_e32 v[118:119], v44, v[118:119]
	s_delay_alu instid0(VALU_DEP_1)
	v_dual_sub_nc_u32 v41, 29, v41 :: v_dual_bitop2_b32 v118, 7, v118 bitop3:0x40
; %bb.1036:                             ;   in Loop: Header=BB0_799 Depth=2
	s_or_b32 exec_lo, exec_lo, s19
	v_lshlrev_b32_e32 v119, 16, v2
	s_delay_alu instid0(VALU_DEP_2) | instskip(NEXT) | instid1(VALU_DEP_3)
	v_lshlrev_b32_e32 v118, 20, v118
	v_lshl_add_u32 v41, v41, 23, 0x3c000000
	s_delay_alu instid0(VALU_DEP_3) | instskip(NEXT) | instid1(VALU_DEP_1)
	v_and_b32_e32 v119, 0x80000000, v119
	v_or3_b32 v41, v118, v119, v41
.LBB0_1037:                             ;   in Loop: Header=BB0_799 Depth=2
	s_or_b32 exec_lo, exec_lo, s18
.LBB0_1038:                             ;   in Loop: Header=BB0_799 Depth=2
	s_delay_alu instid0(SALU_CYCLE_1)
	s_or_b32 exec_lo, exec_lo, s17
.LBB0_1039:                             ;   in Loop: Header=BB0_799 Depth=2
	s_delay_alu instid0(SALU_CYCLE_1) | instskip(SKIP_2) | instid1(VALU_DEP_1)
	s_or_b32 exec_lo, exec_lo, s7
	v_lshrrev_b16 v118, 8, v3
	s_mov_b32 s7, exec_lo
	v_cmpx_ne_u16_e32 0, v118
	s_cbranch_execz .LBB0_1047
; %bb.1040:                             ;   in Loop: Header=BB0_799 Depth=2
	v_bfrev_b32_e32 v40, 1
	s_mov_b32 s17, exec_lo
	v_cmpx_ne_u16_e32 0x80, v118
	s_cbranch_execz .LBB0_1046
; %bb.1041:                             ;   in Loop: Header=BB0_799 Depth=2
	v_and_b32_e32 v118, 0xffff, v118
	v_mov_b32_e32 v40, 0x7f800001
	s_mov_b32 s18, exec_lo
	s_delay_alu instid0(VALU_DEP_2) | instskip(NEXT) | instid1(VALU_DEP_1)
	v_and_b32_e32 v44, 0x7f, v118
	v_cmpx_ne_u32_e32 0x7f, v44
	s_cbranch_execz .LBB0_1045
; %bb.1042:                             ;   in Loop: Header=BB0_799 Depth=2
	v_dual_mov_b32 v119, v65 :: v_dual_bitop2_b32 v118, 7, v118 bitop3:0x40
	v_lshrrev_b32_e32 v40, 3, v44
	s_mov_b32 s19, exec_lo
	v_cmpx_gt_u32_e32 8, v44
; %bb.1043:                             ;   in Loop: Header=BB0_799 Depth=2
	s_delay_alu instid0(VALU_DEP_3) | instskip(NEXT) | instid1(VALU_DEP_1)
	v_clz_i32_u32_e32 v40, v118
	v_min_u32_e32 v40, 32, v40
	s_delay_alu instid0(VALU_DEP_1) | instskip(NEXT) | instid1(VALU_DEP_1)
	v_subrev_nc_u32_e32 v44, 28, v40
	v_lshlrev_b64_e32 v[118:119], v44, v[118:119]
	s_delay_alu instid0(VALU_DEP_1)
	v_dual_sub_nc_u32 v40, 29, v40 :: v_dual_bitop2_b32 v118, 7, v118 bitop3:0x40
; %bb.1044:                             ;   in Loop: Header=BB0_799 Depth=2
	s_or_b32 exec_lo, exec_lo, s19
	s_delay_alu instid0(VALU_DEP_1) | instskip(NEXT) | instid1(VALU_DEP_2)
	v_dual_lshlrev_b32 v3, 16, v3 :: v_dual_lshlrev_b32 v118, 20, v118
	v_lshl_add_u32 v119, v40, 23, 0x3c000000
	s_delay_alu instid0(VALU_DEP_2) | instskip(NEXT) | instid1(VALU_DEP_1)
	v_and_b32_e32 v3, 0x80000000, v3
	v_or3_b32 v40, v118, v3, v119
.LBB0_1045:                             ;   in Loop: Header=BB0_799 Depth=2
	s_or_b32 exec_lo, exec_lo, s18
.LBB0_1046:                             ;   in Loop: Header=BB0_799 Depth=2
	s_delay_alu instid0(SALU_CYCLE_1)
	s_or_b32 exec_lo, exec_lo, s17
.LBB0_1047:                             ;   in Loop: Header=BB0_799 Depth=2
	s_delay_alu instid0(SALU_CYCLE_1) | instskip(NEXT) | instid1(VALU_DEP_1)
	s_or_b32 exec_lo, exec_lo, s7
	v_add_f32_e32 v118, v41, v40
	v_mov_b32_e32 v41, v65
                                        ; implicit-def: $vgpr44
	s_mov_b32 s7, exec_lo
	s_delay_alu instid0(VALU_DEP_2) | instskip(SKIP_1) | instid1(VALU_DEP_2)
	v_and_b32_e32 v40, 0x7f800000, v118
	v_lshrrev_b32_e32 v3, 24, v118
	v_cmpx_ne_u64_e32 0x7f800000, v[40:41]
	s_xor_b32 s17, exec_lo, s7
	s_cbranch_execz .LBB0_1061
; %bb.1048:                             ;   in Loop: Header=BB0_799 Depth=2
	v_and_b32_e32 v40, 0x7fffffff, v118
	v_mov_b32_e32 v41, v65
	v_and_b32_e32 v3, 0x80, v3
                                        ; implicit-def: $vgpr44
	s_mov_b32 s7, exec_lo
	s_delay_alu instid0(VALU_DEP_2)
	v_cmpx_gt_u64_e32 0x43e00001, v[40:41]
	s_xor_b32 s18, exec_lo, s7
	s_cbranch_execz .LBB0_1058
; %bb.1049:                             ;   in Loop: Header=BB0_799 Depth=2
	v_mov_b32_e32 v44, 0
	s_mov_b32 s19, exec_lo
	v_cmpx_ne_u32_e32 0, v118
	s_cbranch_execz .LBB0_1057
; %bb.1050:                             ;   in Loop: Header=BB0_799 Depth=2
	v_bfe_u32 v44, v118, 23, 8
	v_and_b32_e32 v40, 0x7fffff, v118
	s_mov_b32 s20, exec_lo
	s_delay_alu instid0(VALU_DEP_2) | instskip(SKIP_1) | instid1(VALU_DEP_3)
	v_sub_nc_u32_e32 v119, 0x79, v44
	v_cmp_gt_u32_e32 vcc_lo, 0x7a, v44
	v_or_b32_e32 v41, 0x800000, v40
	s_delay_alu instid0(VALU_DEP_3) | instskip(SKIP_1) | instid1(VALU_DEP_3)
	v_cndmask_b32_e32 v119, 0, v119, vcc_lo
	v_cmp_eq_u32_e32 vcc_lo, 0, v44
	v_cndmask_b32_e32 v40, v41, v40, vcc_lo
	s_delay_alu instid0(VALU_DEP_3) | instskip(NEXT) | instid1(VALU_DEP_1)
	v_cndmask_b32_e64 v59, v119, 0x78, vcc_lo
	v_dual_mov_b32 v41, v65 :: v_dual_add_nc_u32 v118, 20, v59
	v_add_nc_u32_e32 v60, 19, v59
	s_delay_alu instid0(VALU_DEP_2) | instskip(NEXT) | instid1(VALU_DEP_2)
	v_lshlrev_b64_e64 v[118:119], v118, -1
	v_lshlrev_b64_e64 v[60:61], v60, 1
	s_delay_alu instid0(VALU_DEP_2) | instskip(NEXT) | instid1(VALU_DEP_3)
	v_bfi_b32 v63, v119, 0, 0
	v_bfi_b32 v62, v118, 0, v40
	v_lshrrev_b64 v[118:119], v59, v[40:41]
	s_delay_alu instid0(VALU_DEP_1) | instskip(NEXT) | instid1(VALU_DEP_3)
	v_mov_b64_e32 v[40:41], v[118:119]
	v_cmpx_eq_u64_e64 v[62:63], v[60:61]
; %bb.1051:                             ;   in Loop: Header=BB0_799 Depth=2
	v_bfe_u32 v40, v118, 20, 1
	v_mov_b32_e32 v41, v65
	s_delay_alu instid0(VALU_DEP_1) | instskip(NEXT) | instid1(VALU_DEP_1)
	v_add_nc_u64_e32 v[40:41], v[118:119], v[40:41]
	v_add_nc_u64_e32 v[40:41], -1, v[40:41]
; %bb.1052:                             ;   in Loop: Header=BB0_799 Depth=2
	s_or_b32 exec_lo, exec_lo, s20
	v_add_nc_u32_e32 v119, 0xffffff81, v44
	v_lshrrev_b32_e32 v41, 23, v118
	s_mov_b32 s7, exec_lo
	s_delay_alu instid0(VALU_DEP_2) | instskip(NEXT) | instid1(VALU_DEP_1)
	v_cndmask_b32_e64 v119, v119, 0xffffff82, vcc_lo
	v_add3_u32 v41, v59, v119, v41
	v_and_b32_e32 v119, 0xfffff, v40
                                        ; implicit-def: $vgpr40
	s_delay_alu instid0(VALU_DEP_1) | instskip(SKIP_1) | instid1(VALU_DEP_2)
	v_dual_add_nc_u32 v44, 6, v41 :: v_dual_add_nc_u32 v118, v119, v118
	v_mov_b32_e32 v119, v65
	v_cmpx_ne_u32_e32 0, v44
	s_xor_b32 s7, exec_lo, s7
; %bb.1053:                             ;   in Loop: Header=BB0_799 Depth=2
	s_delay_alu instid0(VALU_DEP_2) | instskip(SKIP_2) | instid1(VALU_DEP_2)
	v_cmp_lt_u64_e32 vcc_lo, 0xffffff, v[118:119]
	v_add_nc_u32_e32 v40, 7, v41
	v_cndmask_b32_e64 v41, 0, 1, vcc_lo
	v_cndmask_b32_e32 v40, v44, v40, vcc_lo
	s_delay_alu instid0(VALU_DEP_2)
	v_lshrrev_b64 v[118:119], v41, v[118:119]
; %bb.1054:                             ;   in Loop: Header=BB0_799 Depth=2
	s_and_not1_saveexec_b32 s7, s7
; %bb.1055:                             ;   in Loop: Header=BB0_799 Depth=2
	s_delay_alu instid0(VALU_DEP_1)
	v_bfe_u32 v40, v118, 23, 1
; %bb.1056:                             ;   in Loop: Header=BB0_799 Depth=2
	s_or_b32 exec_lo, exec_lo, s7
	s_delay_alu instid0(VALU_DEP_2) | instskip(NEXT) | instid1(VALU_DEP_2)
	v_lshrrev_b64 v[118:119], 20, v[118:119]
	v_cmp_gt_i32_e32 vcc_lo, 16, v40
	v_min_i32_e32 v41, 15, v40
	v_cmp_eq_u32_e64 s7, 0, v40
	s_delay_alu instid0(VALU_DEP_2) | instskip(SKIP_1) | instid1(VALU_DEP_2)
	v_dual_cndmask_b32 v119, 0, v119, vcc_lo :: v_dual_lshlrev_b32 v41, 3, v41
	v_cndmask_b32_e32 v118, 7, v118, vcc_lo
	v_and_b32_e32 v41, 0xf8, v41
	s_delay_alu instid0(VALU_DEP_2) | instskip(NEXT) | instid1(VALU_DEP_2)
	v_cmp_eq_u64_e32 vcc_lo, 0, v[118:119]
	v_and_or_b32 v118, v118, 7, v41
	s_and_b32 s7, s7, vcc_lo
	s_delay_alu instid0(VALU_DEP_1) | instid1(SALU_CYCLE_1)
	v_cndmask_b32_e64 v118, v118, 0, s7
	s_delay_alu instid0(VALU_DEP_1)
	v_or_b32_e32 v44, v118, v3
.LBB0_1057:                             ;   in Loop: Header=BB0_799 Depth=2
	s_or_b32 exec_lo, exec_lo, s19
                                        ; implicit-def: $vgpr3
.LBB0_1058:                             ;   in Loop: Header=BB0_799 Depth=2
	s_and_not1_saveexec_b32 s7, s18
; %bb.1059:                             ;   in Loop: Header=BB0_799 Depth=2
	v_or_b32_e32 v44, 0x7e, v3
; %bb.1060:                             ;   in Loop: Header=BB0_799 Depth=2
	s_or_b32 exec_lo, exec_lo, s7
                                        ; implicit-def: $vgpr3
.LBB0_1061:                             ;   in Loop: Header=BB0_799 Depth=2
	s_and_not1_saveexec_b32 s7, s17
; %bb.1062:                             ;   in Loop: Header=BB0_799 Depth=2
	v_or_b32_e32 v44, 0x7f, v3
; %bb.1063:                             ;   in Loop: Header=BB0_799 Depth=2
	s_or_b32 exec_lo, exec_lo, s7
	v_dual_lshrrev_b32 v41, 16, v2 :: v_dual_mov_b32 v3, 0
	v_mov_b32_e32 v40, 0
	s_mov_b32 s7, exec_lo
	s_delay_alu instid0(VALU_DEP_2) | instskip(NEXT) | instid1(VALU_DEP_1)
	v_and_b32_e32 v118, 0xff, v41
	v_cmpx_ne_u16_e32 0, v118
	s_cbranch_execz .LBB0_1071
; %bb.1064:                             ;   in Loop: Header=BB0_799 Depth=2
	v_bfrev_b32_e32 v40, 1
	s_mov_b32 s17, exec_lo
	v_cmpx_ne_u16_e32 0x80, v118
	s_cbranch_execz .LBB0_1070
; %bb.1065:                             ;   in Loop: Header=BB0_799 Depth=2
	v_bfe_u32 v59, v2, 16, 7
	v_mov_b32_e32 v40, 0x7f800001
	s_mov_b32 s18, exec_lo
	s_delay_alu instid0(VALU_DEP_2)
	v_cmpx_ne_u32_e32 0x7f, v59
	s_cbranch_execz .LBB0_1069
; %bb.1066:                             ;   in Loop: Header=BB0_799 Depth=2
	v_dual_mov_b32 v119, v65 :: v_dual_bitop2_b32 v118, 7, v41 bitop3:0x40
	v_lshrrev_b32_e32 v40, 3, v59
	s_mov_b32 s19, exec_lo
	v_cmpx_gt_u32_e32 8, v59
; %bb.1067:                             ;   in Loop: Header=BB0_799 Depth=2
	s_delay_alu instid0(VALU_DEP_3) | instskip(NEXT) | instid1(VALU_DEP_1)
	v_clz_i32_u32_e32 v40, v118
	v_min_u32_e32 v40, 32, v40
	s_delay_alu instid0(VALU_DEP_1) | instskip(NEXT) | instid1(VALU_DEP_1)
	v_subrev_nc_u32_e32 v59, 28, v40
	v_lshlrev_b64_e32 v[118:119], v59, v[118:119]
	s_delay_alu instid0(VALU_DEP_1)
	v_dual_sub_nc_u32 v40, 29, v40 :: v_dual_bitop2_b32 v118, 7, v118 bitop3:0x40
; %bb.1068:                             ;   in Loop: Header=BB0_799 Depth=2
	s_or_b32 exec_lo, exec_lo, s19
	s_delay_alu instid0(VALU_DEP_1) | instskip(NEXT) | instid1(VALU_DEP_2)
	v_dual_lshlrev_b32 v119, 24, v41 :: v_dual_lshlrev_b32 v118, 20, v118
	v_lshl_add_u32 v40, v40, 23, 0x3c000000
	s_delay_alu instid0(VALU_DEP_2) | instskip(NEXT) | instid1(VALU_DEP_1)
	v_and_b32_e32 v119, 0x80000000, v119
	v_or3_b32 v40, v118, v119, v40
.LBB0_1069:                             ;   in Loop: Header=BB0_799 Depth=2
	s_or_b32 exec_lo, exec_lo, s18
.LBB0_1070:                             ;   in Loop: Header=BB0_799 Depth=2
	s_delay_alu instid0(SALU_CYCLE_1)
	s_or_b32 exec_lo, exec_lo, s17
.LBB0_1071:                             ;   in Loop: Header=BB0_799 Depth=2
	s_delay_alu instid0(SALU_CYCLE_1) | instskip(SKIP_2) | instid1(VALU_DEP_1)
	s_or_b32 exec_lo, exec_lo, s7
	v_lshrrev_b32_e32 v118, 16, v64
	s_mov_b32 s7, exec_lo
	v_and_b32_e32 v119, 0xff, v118
	s_delay_alu instid0(VALU_DEP_1)
	v_cmpx_ne_u16_e32 0, v119
	s_cbranch_execz .LBB0_1079
; %bb.1072:                             ;   in Loop: Header=BB0_799 Depth=2
	v_bfrev_b32_e32 v3, 1
	s_mov_b32 s17, exec_lo
	v_cmpx_ne_u16_e32 0x80, v119
	s_cbranch_execz .LBB0_1078
; %bb.1073:                             ;   in Loop: Header=BB0_799 Depth=2
	v_bfe_u32 v41, v64, 16, 7
	v_mov_b32_e32 v3, 0x7f800001
	s_mov_b32 s18, exec_lo
	s_delay_alu instid0(VALU_DEP_2)
	v_cmpx_ne_u32_e32 0x7f, v41
	s_cbranch_execz .LBB0_1077
; %bb.1074:                             ;   in Loop: Header=BB0_799 Depth=2
	v_dual_mov_b32 v119, v65 :: v_dual_bitop2_b32 v118, 7, v118 bitop3:0x40
	v_lshrrev_b32_e32 v3, 3, v41
	s_mov_b32 s19, exec_lo
	v_cmpx_gt_u32_e32 8, v41
; %bb.1075:                             ;   in Loop: Header=BB0_799 Depth=2
	s_delay_alu instid0(VALU_DEP_3) | instskip(NEXT) | instid1(VALU_DEP_1)
	v_clz_i32_u32_e32 v3, v118
	v_min_u32_e32 v3, 32, v3
	s_delay_alu instid0(VALU_DEP_1) | instskip(NEXT) | instid1(VALU_DEP_1)
	v_subrev_nc_u32_e32 v41, 28, v3
	v_lshlrev_b64_e32 v[118:119], v41, v[118:119]
	s_delay_alu instid0(VALU_DEP_1)
	v_dual_sub_nc_u32 v3, 29, v3 :: v_dual_bitop2_b32 v118, 7, v118 bitop3:0x40
; %bb.1076:                             ;   in Loop: Header=BB0_799 Depth=2
	s_or_b32 exec_lo, exec_lo, s19
	s_delay_alu instid0(VALU_DEP_1) | instskip(NEXT) | instid1(VALU_DEP_2)
	v_dual_lshlrev_b32 v119, 8, v64 :: v_dual_lshlrev_b32 v118, 20, v118
	v_lshl_add_u32 v3, v3, 23, 0x3c000000
	s_delay_alu instid0(VALU_DEP_2) | instskip(NEXT) | instid1(VALU_DEP_1)
	v_and_b32_e32 v119, 0x80000000, v119
	v_or3_b32 v3, v118, v119, v3
.LBB0_1077:                             ;   in Loop: Header=BB0_799 Depth=2
	s_or_b32 exec_lo, exec_lo, s18
.LBB0_1078:                             ;   in Loop: Header=BB0_799 Depth=2
	s_delay_alu instid0(SALU_CYCLE_1)
	s_or_b32 exec_lo, exec_lo, s17
.LBB0_1079:                             ;   in Loop: Header=BB0_799 Depth=2
	s_delay_alu instid0(SALU_CYCLE_1) | instskip(NEXT) | instid1(VALU_DEP_1)
	s_or_b32 exec_lo, exec_lo, s7
	v_dual_add_f32 v118, v40, v3 :: v_dual_mov_b32 v41, v65
	s_delay_alu instid0(VALU_DEP_1) | instskip(SKIP_1) | instid1(VALU_DEP_2)
	v_and_b32_e32 v40, 0x7f800000, v118
	v_lshrrev_b32_e32 v3, 24, v118
	v_cmp_ne_u64_e32 vcc_lo, 0x7f800000, v[40:41]
                                        ; implicit-def: $vgpr40
	s_and_saveexec_b32 s7, vcc_lo
	s_delay_alu instid0(SALU_CYCLE_1)
	s_xor_b32 s17, exec_lo, s7
	s_cbranch_execz .LBB0_1093
; %bb.1080:                             ;   in Loop: Header=BB0_799 Depth=2
	v_and_b32_e32 v40, 0x7fffffff, v118
	v_mov_b32_e32 v41, v65
	v_and_b32_e32 v3, 0x80, v3
	s_delay_alu instid0(VALU_DEP_2) | instskip(SKIP_1) | instid1(SALU_CYCLE_1)
	v_cmp_gt_u64_e32 vcc_lo, 0x43e00001, v[40:41]
                                        ; implicit-def: $vgpr40
	s_and_saveexec_b32 s7, vcc_lo
	s_xor_b32 s18, exec_lo, s7
	s_cbranch_execz .LBB0_1090
; %bb.1081:                             ;   in Loop: Header=BB0_799 Depth=2
	v_mov_b32_e32 v40, 0
	s_mov_b32 s19, exec_lo
	v_cmpx_ne_u32_e32 0, v118
	s_cbranch_execz .LBB0_1089
; %bb.1082:                             ;   in Loop: Header=BB0_799 Depth=2
	v_bfe_u32 v59, v118, 23, 8
	v_and_b32_e32 v40, 0x7fffff, v118
	s_mov_b32 s20, exec_lo
	s_delay_alu instid0(VALU_DEP_2) | instskip(NEXT) | instid1(VALU_DEP_2)
	v_cmp_gt_u32_e32 vcc_lo, 0x7a, v59
	v_or_b32_e32 v41, 0x800000, v40
	v_sub_nc_u32_e32 v119, 0x79, v59
	s_delay_alu instid0(VALU_DEP_1) | instskip(SKIP_1) | instid1(VALU_DEP_2)
	v_cndmask_b32_e32 v119, 0, v119, vcc_lo
	v_cmp_eq_u32_e32 vcc_lo, 0, v59
	v_cndmask_b32_e64 v60, v119, 0x78, vcc_lo
	v_cndmask_b32_e32 v40, v41, v40, vcc_lo
	s_delay_alu instid0(VALU_DEP_2) | instskip(SKIP_1) | instid1(VALU_DEP_2)
	v_dual_mov_b32 v41, v65 :: v_dual_add_nc_u32 v61, 19, v60
	v_add_nc_u32_e32 v118, 20, v60
	v_lshlrev_b64_e64 v[62:63], v61, 1
	s_delay_alu instid0(VALU_DEP_2) | instskip(NEXT) | instid1(VALU_DEP_1)
	v_lshlrev_b64_e64 v[118:119], v118, -1
	v_bfi_b32 v73, v119, 0, 0
	s_delay_alu instid0(VALU_DEP_2) | instskip(SKIP_1) | instid1(VALU_DEP_1)
	v_bfi_b32 v72, v118, 0, v40
	v_lshrrev_b64 v[118:119], v60, v[40:41]
	v_mov_b64_e32 v[40:41], v[118:119]
	s_delay_alu instid0(VALU_DEP_3)
	v_cmpx_eq_u64_e64 v[72:73], v[62:63]
; %bb.1083:                             ;   in Loop: Header=BB0_799 Depth=2
	v_bfe_u32 v40, v118, 20, 1
	v_mov_b32_e32 v41, v65
	s_delay_alu instid0(VALU_DEP_1) | instskip(NEXT) | instid1(VALU_DEP_1)
	v_add_nc_u64_e32 v[40:41], v[118:119], v[40:41]
	v_add_nc_u64_e32 v[40:41], -1, v[40:41]
; %bb.1084:                             ;   in Loop: Header=BB0_799 Depth=2
	s_or_b32 exec_lo, exec_lo, s20
	v_add_nc_u32_e32 v119, 0xffffff81, v59
	v_lshrrev_b32_e32 v41, 23, v118
	s_mov_b32 s7, exec_lo
	s_delay_alu instid0(VALU_DEP_2) | instskip(NEXT) | instid1(VALU_DEP_1)
	v_cndmask_b32_e64 v119, v119, 0xffffff82, vcc_lo
	v_add3_u32 v41, v60, v119, v41
	v_and_b32_e32 v119, 0xfffff, v40
                                        ; implicit-def: $vgpr40
	s_delay_alu instid0(VALU_DEP_1) | instskip(SKIP_1) | instid1(VALU_DEP_2)
	v_dual_add_nc_u32 v59, 6, v41 :: v_dual_add_nc_u32 v118, v119, v118
	v_mov_b32_e32 v119, v65
	v_cmpx_ne_u32_e32 0, v59
	s_xor_b32 s7, exec_lo, s7
; %bb.1085:                             ;   in Loop: Header=BB0_799 Depth=2
	s_delay_alu instid0(VALU_DEP_2) | instskip(SKIP_2) | instid1(VALU_DEP_2)
	v_cmp_lt_u64_e32 vcc_lo, 0xffffff, v[118:119]
	v_add_nc_u32_e32 v40, 7, v41
	v_cndmask_b32_e64 v41, 0, 1, vcc_lo
	v_cndmask_b32_e32 v40, v59, v40, vcc_lo
	s_delay_alu instid0(VALU_DEP_2)
	v_lshrrev_b64 v[118:119], v41, v[118:119]
; %bb.1086:                             ;   in Loop: Header=BB0_799 Depth=2
	s_and_not1_saveexec_b32 s7, s7
; %bb.1087:                             ;   in Loop: Header=BB0_799 Depth=2
	s_delay_alu instid0(VALU_DEP_1)
	v_bfe_u32 v40, v118, 23, 1
; %bb.1088:                             ;   in Loop: Header=BB0_799 Depth=2
	s_or_b32 exec_lo, exec_lo, s7
	s_delay_alu instid0(VALU_DEP_2) | instskip(NEXT) | instid1(VALU_DEP_2)
	v_lshrrev_b64 v[118:119], 20, v[118:119]
	v_cmp_gt_i32_e32 vcc_lo, 16, v40
	v_min_i32_e32 v41, 15, v40
	v_cmp_eq_u32_e64 s7, 0, v40
	s_delay_alu instid0(VALU_DEP_2) | instskip(SKIP_1) | instid1(VALU_DEP_2)
	v_dual_cndmask_b32 v119, 0, v119, vcc_lo :: v_dual_lshlrev_b32 v41, 3, v41
	v_cndmask_b32_e32 v118, 7, v118, vcc_lo
	v_and_b32_e32 v41, 0xf8, v41
	s_delay_alu instid0(VALU_DEP_2) | instskip(NEXT) | instid1(VALU_DEP_2)
	v_cmp_eq_u64_e32 vcc_lo, 0, v[118:119]
	v_and_or_b32 v118, v118, 7, v41
	s_and_b32 s7, s7, vcc_lo
	s_delay_alu instid0(VALU_DEP_1) | instid1(SALU_CYCLE_1)
	v_cndmask_b32_e64 v118, v118, 0, s7
	s_delay_alu instid0(VALU_DEP_1)
	v_or_b32_e32 v40, v118, v3
.LBB0_1089:                             ;   in Loop: Header=BB0_799 Depth=2
	s_or_b32 exec_lo, exec_lo, s19
                                        ; implicit-def: $vgpr3
.LBB0_1090:                             ;   in Loop: Header=BB0_799 Depth=2
	s_and_not1_saveexec_b32 s7, s18
; %bb.1091:                             ;   in Loop: Header=BB0_799 Depth=2
	v_or_b32_e32 v40, 0x7e, v3
; %bb.1092:                             ;   in Loop: Header=BB0_799 Depth=2
	s_or_b32 exec_lo, exec_lo, s7
                                        ; implicit-def: $vgpr3
.LBB0_1093:                             ;   in Loop: Header=BB0_799 Depth=2
	s_and_not1_saveexec_b32 s7, s17
; %bb.1094:                             ;   in Loop: Header=BB0_799 Depth=2
	v_or_b32_e32 v40, 0x7f, v3
; %bb.1095:                             ;   in Loop: Header=BB0_799 Depth=2
	s_or_b32 exec_lo, exec_lo, s7
	v_dual_mov_b32 v118, 0 :: v_dual_mov_b32 v3, 0
	s_mov_b32 s7, exec_lo
	v_cmpx_lt_u32_e32 0xffffff, v2
	s_cbranch_execz .LBB0_1103
; %bb.1096:                             ;   in Loop: Header=BB0_799 Depth=2
	v_lshrrev_b32_e32 v119, 24, v2
	v_bfrev_b32_e32 v3, 1
	s_mov_b32 s17, exec_lo
	s_delay_alu instid0(VALU_DEP_2)
	v_cmpx_ne_u32_e32 0x80, v119
	s_cbranch_execz .LBB0_1102
; %bb.1097:                             ;   in Loop: Header=BB0_799 Depth=2
	v_bfe_u32 v59, v2, 24, 7
	v_mov_b32_e32 v3, 0x7f800001
	s_mov_b32 s18, exec_lo
	s_delay_alu instid0(VALU_DEP_2)
	v_cmpx_ne_u32_e32 0x7f, v59
	s_cbranch_execz .LBB0_1101
; %bb.1098:                             ;   in Loop: Header=BB0_799 Depth=2
	v_dual_mov_b32 v3, v65 :: v_dual_bitop2_b32 v2, 7, v119 bitop3:0x40
	v_lshrrev_b32_e32 v41, 3, v59
	s_mov_b32 s19, exec_lo
	v_cmpx_gt_u32_e32 8, v59
; %bb.1099:                             ;   in Loop: Header=BB0_799 Depth=2
	s_delay_alu instid0(VALU_DEP_3) | instskip(NEXT) | instid1(VALU_DEP_1)
	v_clz_i32_u32_e32 v41, v2
	v_min_u32_e32 v41, 32, v41
	s_delay_alu instid0(VALU_DEP_1) | instskip(NEXT) | instid1(VALU_DEP_1)
	v_subrev_nc_u32_e32 v59, 28, v41
	v_lshlrev_b64_e32 v[2:3], v59, v[2:3]
	s_delay_alu instid0(VALU_DEP_1)
	v_dual_sub_nc_u32 v41, 29, v41 :: v_dual_bitop2_b32 v2, 7, v2 bitop3:0x40
; %bb.1100:                             ;   in Loop: Header=BB0_799 Depth=2
	s_or_b32 exec_lo, exec_lo, s19
	s_delay_alu instid0(VALU_DEP_1) | instskip(NEXT) | instid1(VALU_DEP_2)
	v_dual_lshlrev_b32 v3, 24, v119 :: v_dual_lshlrev_b32 v2, 20, v2
	v_lshl_add_u32 v119, v41, 23, 0x3c000000
	s_delay_alu instid0(VALU_DEP_2) | instskip(NEXT) | instid1(VALU_DEP_1)
	v_and_b32_e32 v3, 0x80000000, v3
	v_or3_b32 v3, v2, v3, v119
.LBB0_1101:                             ;   in Loop: Header=BB0_799 Depth=2
	s_or_b32 exec_lo, exec_lo, s18
.LBB0_1102:                             ;   in Loop: Header=BB0_799 Depth=2
	s_delay_alu instid0(SALU_CYCLE_1)
	s_or_b32 exec_lo, exec_lo, s17
.LBB0_1103:                             ;   in Loop: Header=BB0_799 Depth=2
	s_delay_alu instid0(SALU_CYCLE_1) | instskip(NEXT) | instid1(SALU_CYCLE_1)
	s_or_b32 exec_lo, exec_lo, s7
	s_mov_b32 s7, exec_lo
	v_cmpx_lt_u32_e32 0xffffff, v64
	s_cbranch_execz .LBB0_1111
; %bb.1104:                             ;   in Loop: Header=BB0_799 Depth=2
	v_lshrrev_b32_e32 v2, 24, v64
	v_bfrev_b32_e32 v118, 1
	s_mov_b32 s17, exec_lo
	s_delay_alu instid0(VALU_DEP_2)
	v_cmpx_ne_u32_e32 0x80, v2
	s_cbranch_execz .LBB0_1110
; %bb.1105:                             ;   in Loop: Header=BB0_799 Depth=2
	v_bfe_u32 v119, v64, 24, 7
	v_mov_b32_e32 v118, 0x7f800001
	s_mov_b32 s18, exec_lo
	s_delay_alu instid0(VALU_DEP_2)
	v_cmpx_ne_u32_e32 0x7f, v119
	s_cbranch_execz .LBB0_1109
; %bb.1106:                             ;   in Loop: Header=BB0_799 Depth=2
	v_dual_lshrrev_b32 v118, 3, v119 :: v_dual_bitop2_b32 v64, 7, v2 bitop3:0x40
	s_mov_b32 s19, exec_lo
	v_cmpx_gt_u32_e32 8, v119
; %bb.1107:                             ;   in Loop: Header=BB0_799 Depth=2
	s_delay_alu instid0(VALU_DEP_2) | instskip(NEXT) | instid1(VALU_DEP_1)
	v_clz_i32_u32_e32 v118, v64
	v_min_u32_e32 v118, 32, v118
	s_delay_alu instid0(VALU_DEP_1) | instskip(NEXT) | instid1(VALU_DEP_1)
	v_subrev_nc_u32_e32 v119, 28, v118
	v_lshlrev_b64_e32 v[60:61], v119, v[64:65]
	s_delay_alu instid0(VALU_DEP_1)
	v_dual_sub_nc_u32 v118, 29, v118 :: v_dual_bitop2_b32 v64, 7, v60 bitop3:0x40
; %bb.1108:                             ;   in Loop: Header=BB0_799 Depth=2
	s_or_b32 exec_lo, exec_lo, s19
	s_delay_alu instid0(VALU_DEP_1) | instskip(NEXT) | instid1(VALU_DEP_2)
	v_dual_lshlrev_b32 v2, 24, v2 :: v_dual_lshlrev_b32 v64, 20, v64
	v_lshl_add_u32 v118, v118, 23, 0x3c000000
	s_delay_alu instid0(VALU_DEP_2) | instskip(NEXT) | instid1(VALU_DEP_1)
	v_and_b32_e32 v2, 0x80000000, v2
	v_or3_b32 v118, v64, v2, v118
.LBB0_1109:                             ;   in Loop: Header=BB0_799 Depth=2
	s_or_b32 exec_lo, exec_lo, s18
.LBB0_1110:                             ;   in Loop: Header=BB0_799 Depth=2
	s_delay_alu instid0(SALU_CYCLE_1)
	s_or_b32 exec_lo, exec_lo, s17
.LBB0_1111:                             ;   in Loop: Header=BB0_799 Depth=2
	s_delay_alu instid0(SALU_CYCLE_1) | instskip(NEXT) | instid1(VALU_DEP_1)
	s_or_b32 exec_lo, exec_lo, s7
	v_add_f32_e32 v2, v3, v118
                                        ; implicit-def: $vgpr41
	s_mov_b32 s7, exec_lo
	s_delay_alu instid0(VALU_DEP_1) | instskip(SKIP_1) | instid1(VALU_DEP_2)
	v_and_b32_e32 v64, 0x7f800000, v2
	v_lshrrev_b32_e32 v3, 24, v2
	v_cmpx_ne_u64_e32 0x7f800000, v[64:65]
	s_xor_b32 s17, exec_lo, s7
	s_cbranch_execz .LBB0_1125
; %bb.1112:                             ;   in Loop: Header=BB0_799 Depth=2
	v_and_b32_e32 v64, 0x7fffffff, v2
	v_and_b32_e32 v59, 0x80, v3
                                        ; implicit-def: $vgpr41
	s_mov_b32 s7, exec_lo
	s_delay_alu instid0(VALU_DEP_2)
	v_cmpx_gt_u64_e32 0x43e00001, v[64:65]
	s_xor_b32 s18, exec_lo, s7
	s_cbranch_execz .LBB0_1122
; %bb.1113:                             ;   in Loop: Header=BB0_799 Depth=2
	v_mov_b32_e32 v41, 0
	s_mov_b32 s19, exec_lo
	v_cmpx_ne_u32_e32 0, v2
	s_cbranch_execz .LBB0_1121
; %bb.1114:                             ;   in Loop: Header=BB0_799 Depth=2
	v_bfe_u32 v41, v2, 23, 8
	v_and_b32_e32 v64, 0x7fffff, v2
	s_delay_alu instid0(VALU_DEP_2) | instskip(NEXT) | instid1(VALU_DEP_2)
	v_cmp_gt_u32_e32 vcc_lo, 0x7a, v41
	v_or_b32_e32 v118, 0x800000, v64
	v_sub_nc_u32_e32 v3, 0x79, v41
	s_delay_alu instid0(VALU_DEP_1) | instskip(SKIP_1) | instid1(VALU_DEP_2)
	v_cndmask_b32_e32 v3, 0, v3, vcc_lo
	v_cmp_eq_u32_e32 vcc_lo, 0, v41
	v_cndmask_b32_e64 v60, v3, 0x78, vcc_lo
	v_cndmask_b32_e32 v64, v118, v64, vcc_lo
	s_delay_alu instid0(VALU_DEP_2) | instskip(NEXT) | instid1(VALU_DEP_1)
	v_dual_add_nc_u32 v2, 20, v60 :: v_dual_add_nc_u32 v119, 19, v60
	v_lshlrev_b64_e64 v[2:3], v2, -1
	s_delay_alu instid0(VALU_DEP_2) | instskip(NEXT) | instid1(VALU_DEP_2)
	v_lshlrev_b64_e64 v[118:119], v119, 1
	v_bfi_b32 v63, v3, 0, 0
	s_delay_alu instid0(VALU_DEP_3) | instskip(SKIP_1) | instid1(VALU_DEP_2)
	v_bfi_b32 v62, v2, 0, v64
	v_lshrrev_b64 v[2:3], v60, v[64:65]
	v_cmp_eq_u64_e64 s7, v[62:63], v[118:119]
	s_delay_alu instid0(VALU_DEP_2)
	v_mov_b64_e32 v[118:119], v[2:3]
	s_and_saveexec_b32 s20, s7
; %bb.1115:                             ;   in Loop: Header=BB0_799 Depth=2
	v_bfe_u32 v64, v2, 20, 1
	s_delay_alu instid0(VALU_DEP_1) | instskip(NEXT) | instid1(VALU_DEP_1)
	v_add_nc_u64_e32 v[118:119], v[2:3], v[64:65]
	v_add_nc_u64_e32 v[118:119], -1, v[118:119]
; %bb.1116:                             ;   in Loop: Header=BB0_799 Depth=2
	s_or_b32 exec_lo, exec_lo, s20
	v_add_nc_u32_e32 v3, 0xffffff81, v41
	v_lshrrev_b32_e32 v64, 23, v2
	s_mov_b32 s7, exec_lo
	s_delay_alu instid0(VALU_DEP_2) | instskip(NEXT) | instid1(VALU_DEP_1)
	v_cndmask_b32_e64 v3, v3, 0xffffff82, vcc_lo
	v_add3_u32 v119, v60, v3, v64
	v_and_b32_e32 v3, 0xfffff, v118
                                        ; implicit-def: $vgpr118
	s_delay_alu instid0(VALU_DEP_1) | instskip(NEXT) | instid1(VALU_DEP_1)
	v_dual_add_nc_u32 v41, 6, v119 :: v_dual_add_nc_u32 v64, v3, v2
                                        ; implicit-def: $vgpr2_vgpr3
	v_cmpx_ne_u32_e32 0, v41
	s_xor_b32 s7, exec_lo, s7
; %bb.1117:                             ;   in Loop: Header=BB0_799 Depth=2
	s_delay_alu instid0(VALU_DEP_2) | instskip(SKIP_1) | instid1(VALU_DEP_1)
	v_cmp_lt_u64_e32 vcc_lo, 0xffffff, v[64:65]
	v_add_nc_u32_e32 v2, 7, v119
	v_cndmask_b32_e32 v118, v41, v2, vcc_lo
	v_cndmask_b32_e64 v2, 0, 1, vcc_lo
	s_delay_alu instid0(VALU_DEP_1)
	v_lshrrev_b64 v[2:3], v2, v[64:65]
; %bb.1118:                             ;   in Loop: Header=BB0_799 Depth=2
	s_and_not1_saveexec_b32 s7, s7
; %bb.1119:                             ;   in Loop: Header=BB0_799 Depth=2
	v_mov_b64_e32 v[2:3], v[64:65]
	v_bfe_u32 v118, v64, 23, 1
; %bb.1120:                             ;   in Loop: Header=BB0_799 Depth=2
	s_or_b32 exec_lo, exec_lo, s7
	s_delay_alu instid0(VALU_DEP_2) | instskip(NEXT) | instid1(VALU_DEP_2)
	v_lshrrev_b64 v[2:3], 20, v[2:3]
	v_cmp_gt_i32_e32 vcc_lo, 16, v118
	v_min_i32_e32 v64, 15, v118
	v_cmp_eq_u32_e64 s7, 0, v118
	s_delay_alu instid0(VALU_DEP_2) | instskip(SKIP_1) | instid1(VALU_DEP_2)
	v_dual_cndmask_b32 v3, 0, v3 :: v_dual_lshlrev_b32 v64, 3, v64
	v_cndmask_b32_e32 v2, 7, v2, vcc_lo
	v_and_b32_e32 v64, 0xf8, v64
	s_delay_alu instid0(VALU_DEP_2) | instskip(NEXT) | instid1(VALU_DEP_2)
	v_cmp_eq_u64_e32 vcc_lo, 0, v[2:3]
	v_and_or_b32 v2, v2, 7, v64
	s_and_b32 s7, s7, vcc_lo
	s_delay_alu instid0(VALU_DEP_1) | instid1(SALU_CYCLE_1)
	v_cndmask_b32_e64 v2, v2, 0, s7
	s_delay_alu instid0(VALU_DEP_1)
	v_or_b32_e32 v41, v2, v59
.LBB0_1121:                             ;   in Loop: Header=BB0_799 Depth=2
	s_or_b32 exec_lo, exec_lo, s19
                                        ; implicit-def: $vgpr59
.LBB0_1122:                             ;   in Loop: Header=BB0_799 Depth=2
	s_and_not1_saveexec_b32 s7, s18
; %bb.1123:                             ;   in Loop: Header=BB0_799 Depth=2
	v_or_b32_e32 v41, 0x7e, v59
; %bb.1124:                             ;   in Loop: Header=BB0_799 Depth=2
	s_or_b32 exec_lo, exec_lo, s7
                                        ; implicit-def: $vgpr3
.LBB0_1125:                             ;   in Loop: Header=BB0_799 Depth=2
	s_and_not1_saveexec_b32 s7, s17
; %bb.1126:                             ;   in Loop: Header=BB0_799 Depth=2
	v_or_b32_e32 v41, 0x7f, v3
; %bb.1127:                             ;   in Loop: Header=BB0_799 Depth=2
	s_or_b32 exec_lo, exec_lo, s7
	v_and_b32_e32 v64, 0xff, v4
	v_dual_mov_b32 v2, 0 :: v_dual_mov_b32 v3, 0
	s_mov_b32 s7, exec_lo
	s_delay_alu instid0(VALU_DEP_2)
	v_cmpx_ne_u16_e32 0, v64
	s_cbranch_execz .LBB0_1133
; %bb.1128:                             ;   in Loop: Header=BB0_799 Depth=2
	v_bfrev_b32_e32 v3, 1
	s_mov_b32 s17, exec_lo
	v_cmpx_ne_u16_e32 0x80, v64
	s_cbranch_execz .LBB0_1132
; %bb.1129:                             ;   in Loop: Header=BB0_799 Depth=2
	v_and_b32_e32 v64, 0x7f, v4
	v_mov_b32_e32 v3, 0x7f800001
	s_mov_b32 s18, exec_lo
	s_delay_alu instid0(VALU_DEP_2)
	v_cmpx_ne_u32_e32 0x7f, v64
	s_cbranch_execz .LBB0_1131
; %bb.1130:                             ;   in Loop: Header=BB0_799 Depth=2
	v_cmp_gt_u32_e32 vcc_lo, 8, v64
	v_and_b32_e32 v3, 7, v4
	s_delay_alu instid0(VALU_DEP_1) | instskip(NEXT) | instid1(VALU_DEP_1)
	v_clz_i32_u32_e32 v3, v3
	v_min_u32_e32 v3, 32, v3
	v_lshrrev_b32_e32 v118, 3, v64
	s_delay_alu instid0(VALU_DEP_2) | instskip(SKIP_1) | instid1(VALU_DEP_2)
	v_subrev_nc_u32_e32 v119, 28, v3
	v_sub_nc_u32_e32 v3, 29, v3
	v_cndmask_b32_e32 v64, 0, v119, vcc_lo
	s_delay_alu instid0(VALU_DEP_2) | instskip(NEXT) | instid1(VALU_DEP_2)
	v_cndmask_b32_e32 v3, v118, v3, vcc_lo
	v_lshlrev_b64_e32 v[118:119], v64, v[4:5]
	v_lshlrev_b32_e32 v5, 24, v4
	s_delay_alu instid0(VALU_DEP_3) | instskip(NEXT) | instid1(VALU_DEP_2)
	v_lshl_add_u32 v3, v3, 23, 0x3c000000
	v_and_b32_e32 v5, 0x80000000, v5
	s_delay_alu instid0(VALU_DEP_4) | instskip(NEXT) | instid1(VALU_DEP_1)
	v_lshlrev_b32_e32 v64, 20, v118
	v_and_b32_e32 v64, 0x700000, v64
	s_delay_alu instid0(VALU_DEP_1)
	v_or3_b32 v3, v64, v5, v3
.LBB0_1131:                             ;   in Loop: Header=BB0_799 Depth=2
	s_or_b32 exec_lo, exec_lo, s18
.LBB0_1132:                             ;   in Loop: Header=BB0_799 Depth=2
	s_delay_alu instid0(SALU_CYCLE_1)
	s_or_b32 exec_lo, exec_lo, s17
.LBB0_1133:                             ;   in Loop: Header=BB0_799 Depth=2
	s_delay_alu instid0(SALU_CYCLE_1) | instskip(SKIP_3) | instid1(VALU_DEP_1)
	s_or_b32 exec_lo, exec_lo, s7
	v_dual_lshlrev_b32 v64, 24, v47 :: v_dual_lshlrev_b32 v118, 16, v46
	v_lshl_or_b32 v5, v45, 8, v43
	s_mov_b32 s7, exec_lo
	v_or3_b32 v64, v118, v64, v5
	v_cmpx_ne_u32_e32 0, v43
	s_cbranch_execz .LBB0_1139
; %bb.1134:                             ;   in Loop: Header=BB0_799 Depth=2
	v_bfrev_b32_e32 v2, 1
	s_mov_b32 s17, exec_lo
	v_cmpx_ne_u32_e32 0x80, v43
	s_cbranch_execz .LBB0_1138
; %bb.1135:                             ;   in Loop: Header=BB0_799 Depth=2
	v_and_b32_e32 v118, 0x7f, v43
	v_mov_b32_e32 v2, 0x7f800001
	s_mov_b32 s18, exec_lo
	s_delay_alu instid0(VALU_DEP_2)
	v_cmpx_ne_u32_e32 0x7f, v118
	s_cbranch_execz .LBB0_1137
; %bb.1136:                             ;   in Loop: Header=BB0_799 Depth=2
	v_dual_lshrrev_b32 v119, 3, v118 :: v_dual_bitop2_b32 v2, 7, v43 bitop3:0x40
	v_cmp_gt_u32_e32 vcc_lo, 8, v118
	s_delay_alu instid0(VALU_DEP_2) | instskip(NEXT) | instid1(VALU_DEP_1)
	v_clz_i32_u32_e32 v2, v2
	v_min_u32_e32 v2, 32, v2
	s_delay_alu instid0(VALU_DEP_1) | instskip(NEXT) | instid1(VALU_DEP_1)
	v_subrev_nc_u32_e32 v43, 28, v2
	v_dual_sub_nc_u32 v2, 29, v2 :: v_dual_cndmask_b32 v118, 0, v43, vcc_lo
	s_delay_alu instid0(VALU_DEP_1) | instskip(NEXT) | instid1(VALU_DEP_2)
	v_cndmask_b32_e32 v2, v119, v2, vcc_lo
	v_lshlrev_b64_e32 v[118:119], v118, v[64:65]
	v_lshlrev_b32_e32 v119, 24, v64
	s_delay_alu instid0(VALU_DEP_3) | instskip(NEXT) | instid1(VALU_DEP_2)
	v_lshl_add_u32 v2, v2, 23, 0x3c000000
	v_and_b32_e32 v119, 0x80000000, v119
	s_delay_alu instid0(VALU_DEP_4) | instskip(NEXT) | instid1(VALU_DEP_1)
	v_lshlrev_b32_e32 v118, 20, v118
	v_and_b32_e32 v118, 0x700000, v118
	s_delay_alu instid0(VALU_DEP_1)
	v_or3_b32 v2, v118, v119, v2
.LBB0_1137:                             ;   in Loop: Header=BB0_799 Depth=2
	s_or_b32 exec_lo, exec_lo, s18
.LBB0_1138:                             ;   in Loop: Header=BB0_799 Depth=2
	s_delay_alu instid0(SALU_CYCLE_1)
	s_or_b32 exec_lo, exec_lo, s17
.LBB0_1139:                             ;   in Loop: Header=BB0_799 Depth=2
	s_delay_alu instid0(SALU_CYCLE_1) | instskip(NEXT) | instid1(VALU_DEP_1)
	s_or_b32 exec_lo, exec_lo, s7
	v_dual_add_f32 v2, v3, v2 :: v_dual_mov_b32 v119, v65
                                        ; implicit-def: $vgpr43
	s_mov_b32 s7, exec_lo
	s_delay_alu instid0(VALU_DEP_1) | instskip(SKIP_1) | instid1(VALU_DEP_2)
	v_and_b32_e32 v118, 0x7f800000, v2
	v_lshrrev_b32_e32 v3, 24, v2
	v_cmpx_ne_u64_e32 0x7f800000, v[118:119]
	s_xor_b32 s17, exec_lo, s7
	s_cbranch_execz .LBB0_1153
; %bb.1140:                             ;   in Loop: Header=BB0_799 Depth=2
	v_and_b32_e32 v118, 0x7fffffff, v2
	v_mov_b32_e32 v119, v65
	v_and_b32_e32 v45, 0x80, v3
                                        ; implicit-def: $vgpr43
	s_mov_b32 s7, exec_lo
	s_delay_alu instid0(VALU_DEP_2)
	v_cmpx_gt_u64_e32 0x43e00001, v[118:119]
	s_xor_b32 s18, exec_lo, s7
	s_cbranch_execz .LBB0_1150
; %bb.1141:                             ;   in Loop: Header=BB0_799 Depth=2
	v_mov_b32_e32 v43, 0
	s_mov_b32 s19, exec_lo
	v_cmpx_ne_u32_e32 0, v2
	s_cbranch_execz .LBB0_1149
; %bb.1142:                             ;   in Loop: Header=BB0_799 Depth=2
	v_bfe_u32 v43, v2, 23, 8
	v_and_b32_e32 v118, 0x7fffff, v2
	s_mov_b32 s20, exec_lo
	s_delay_alu instid0(VALU_DEP_2) | instskip(NEXT) | instid1(VALU_DEP_2)
	v_cmp_gt_u32_e32 vcc_lo, 0x7a, v43
	v_or_b32_e32 v119, 0x800000, v118
	v_sub_nc_u32_e32 v3, 0x79, v43
	s_delay_alu instid0(VALU_DEP_1) | instskip(SKIP_1) | instid1(VALU_DEP_2)
	v_cndmask_b32_e32 v3, 0, v3, vcc_lo
	v_cmp_eq_u32_e32 vcc_lo, 0, v43
	v_cndmask_b32_e64 v46, v3, 0x78, vcc_lo
	v_dual_cndmask_b32 v118, v119, v118 :: v_dual_mov_b32 v119, v65
	s_delay_alu instid0(VALU_DEP_2) | instskip(NEXT) | instid1(VALU_DEP_1)
	v_dual_add_nc_u32 v47, 19, v46 :: v_dual_add_nc_u32 v2, 20, v46
	v_lshlrev_b64_e64 v[60:61], v47, 1
	s_delay_alu instid0(VALU_DEP_2) | instskip(NEXT) | instid1(VALU_DEP_1)
	v_lshlrev_b64_e64 v[2:3], v2, -1
	v_bfi_b32 v63, v3, 0, 0
	s_delay_alu instid0(VALU_DEP_2) | instskip(SKIP_1) | instid1(VALU_DEP_1)
	v_bfi_b32 v62, v2, 0, v118
	v_lshrrev_b64 v[2:3], v46, v[118:119]
	v_mov_b64_e32 v[118:119], v[2:3]
	s_delay_alu instid0(VALU_DEP_3)
	v_cmpx_eq_u64_e64 v[62:63], v[60:61]
; %bb.1143:                             ;   in Loop: Header=BB0_799 Depth=2
	v_bfe_u32 v118, v2, 20, 1
	v_mov_b32_e32 v119, v65
	s_delay_alu instid0(VALU_DEP_1) | instskip(NEXT) | instid1(VALU_DEP_1)
	v_add_nc_u64_e32 v[118:119], v[2:3], v[118:119]
	v_add_nc_u64_e32 v[118:119], -1, v[118:119]
; %bb.1144:                             ;   in Loop: Header=BB0_799 Depth=2
	s_or_b32 exec_lo, exec_lo, s20
	v_add_nc_u32_e32 v3, 0xffffff81, v43
	v_lshrrev_b32_e32 v119, 23, v2
	s_mov_b32 s7, exec_lo
	s_delay_alu instid0(VALU_DEP_2) | instskip(NEXT) | instid1(VALU_DEP_1)
	v_cndmask_b32_e64 v3, v3, 0xffffff82, vcc_lo
	v_add3_u32 v119, v46, v3, v119
	v_and_b32_e32 v3, 0xfffff, v118
                                        ; implicit-def: $vgpr118
	s_delay_alu instid0(VALU_DEP_1) | instskip(SKIP_1) | instid1(VALU_DEP_2)
	v_dual_add_nc_u32 v43, 6, v119 :: v_dual_add_nc_u32 v2, v3, v2
	v_mov_b32_e32 v3, v65
	v_cmpx_ne_u32_e32 0, v43
	s_xor_b32 s7, exec_lo, s7
; %bb.1145:                             ;   in Loop: Header=BB0_799 Depth=2
	s_delay_alu instid0(VALU_DEP_2) | instskip(SKIP_2) | instid1(VALU_DEP_2)
	v_cmp_lt_u64_e32 vcc_lo, 0xffffff, v[2:3]
	v_add_nc_u32_e32 v118, 7, v119
	v_cndmask_b32_e64 v119, 0, 1, vcc_lo
	v_cndmask_b32_e32 v118, v43, v118, vcc_lo
	s_delay_alu instid0(VALU_DEP_2)
	v_lshrrev_b64 v[2:3], v119, v[2:3]
; %bb.1146:                             ;   in Loop: Header=BB0_799 Depth=2
	s_and_not1_saveexec_b32 s7, s7
; %bb.1147:                             ;   in Loop: Header=BB0_799 Depth=2
	s_delay_alu instid0(VALU_DEP_1)
	v_bfe_u32 v118, v2, 23, 1
; %bb.1148:                             ;   in Loop: Header=BB0_799 Depth=2
	s_or_b32 exec_lo, exec_lo, s7
	s_delay_alu instid0(VALU_DEP_2) | instskip(NEXT) | instid1(VALU_DEP_2)
	v_lshrrev_b64 v[2:3], 20, v[2:3]
	v_cmp_gt_i32_e32 vcc_lo, 16, v118
	v_min_i32_e32 v119, 15, v118
	v_cmp_eq_u32_e64 s7, 0, v118
	s_delay_alu instid0(VALU_DEP_4) | instskip(NEXT) | instid1(VALU_DEP_3)
	v_cndmask_b32_e32 v3, 0, v3, vcc_lo
	v_dual_cndmask_b32 v2, 7, v2 :: v_dual_lshlrev_b32 v119, 3, v119
	s_delay_alu instid0(VALU_DEP_1) | instskip(NEXT) | instid1(VALU_DEP_2)
	v_and_b32_e32 v119, 0xf8, v119
	v_cmp_eq_u64_e32 vcc_lo, 0, v[2:3]
	s_delay_alu instid0(VALU_DEP_2)
	v_and_or_b32 v2, v2, 7, v119
	s_and_b32 s7, s7, vcc_lo
	s_delay_alu instid0(VALU_DEP_1) | instid1(SALU_CYCLE_1)
	v_cndmask_b32_e64 v2, v2, 0, s7
	s_delay_alu instid0(VALU_DEP_1)
	v_or_b32_e32 v43, v2, v45
.LBB0_1149:                             ;   in Loop: Header=BB0_799 Depth=2
	s_or_b32 exec_lo, exec_lo, s19
                                        ; implicit-def: $vgpr45
.LBB0_1150:                             ;   in Loop: Header=BB0_799 Depth=2
	s_and_not1_saveexec_b32 s7, s18
; %bb.1151:                             ;   in Loop: Header=BB0_799 Depth=2
	v_or_b32_e32 v43, 0x7e, v45
; %bb.1152:                             ;   in Loop: Header=BB0_799 Depth=2
	s_or_b32 exec_lo, exec_lo, s7
                                        ; implicit-def: $vgpr3
.LBB0_1153:                             ;   in Loop: Header=BB0_799 Depth=2
	s_and_not1_saveexec_b32 s7, s17
; %bb.1154:                             ;   in Loop: Header=BB0_799 Depth=2
	v_or_b32_e32 v43, 0x7f, v3
; %bb.1155:                             ;   in Loop: Header=BB0_799 Depth=2
	s_or_b32 exec_lo, exec_lo, s7
	v_lshrrev_b16 v2, 8, v4
	v_dual_mov_b32 v118, 0 :: v_dual_mov_b32 v119, 0
	s_mov_b32 s7, exec_lo
	s_delay_alu instid0(VALU_DEP_2)
	v_cmpx_ne_u16_e32 0, v2
	s_cbranch_execz .LBB0_1163
; %bb.1156:                             ;   in Loop: Header=BB0_799 Depth=2
	v_bfrev_b32_e32 v119, 1
	s_mov_b32 s17, exec_lo
	v_cmpx_ne_u16_e32 0x80, v2
	s_cbranch_execz .LBB0_1162
; %bb.1157:                             ;   in Loop: Header=BB0_799 Depth=2
	v_and_b32_e32 v2, 0xffff, v2
	v_mov_b32_e32 v119, 0x7f800001
	s_mov_b32 s18, exec_lo
	s_delay_alu instid0(VALU_DEP_2) | instskip(NEXT) | instid1(VALU_DEP_1)
	v_and_b32_e32 v45, 0x7f, v2
	v_cmpx_ne_u32_e32 0x7f, v45
	s_cbranch_execz .LBB0_1161
; %bb.1158:                             ;   in Loop: Header=BB0_799 Depth=2
	v_dual_mov_b32 v3, v65 :: v_dual_bitop2_b32 v2, 7, v2 bitop3:0x40
	v_lshrrev_b32_e32 v119, 3, v45
	s_mov_b32 s19, exec_lo
	v_cmpx_gt_u32_e32 8, v45
; %bb.1159:                             ;   in Loop: Header=BB0_799 Depth=2
	s_delay_alu instid0(VALU_DEP_3) | instskip(NEXT) | instid1(VALU_DEP_1)
	v_clz_i32_u32_e32 v119, v2
	v_min_u32_e32 v119, 32, v119
	s_delay_alu instid0(VALU_DEP_1) | instskip(NEXT) | instid1(VALU_DEP_1)
	v_subrev_nc_u32_e32 v45, 28, v119
	v_lshlrev_b64_e32 v[2:3], v45, v[2:3]
	s_delay_alu instid0(VALU_DEP_1)
	v_dual_sub_nc_u32 v119, 29, v119 :: v_dual_bitop2_b32 v2, 7, v2 bitop3:0x40
; %bb.1160:                             ;   in Loop: Header=BB0_799 Depth=2
	s_or_b32 exec_lo, exec_lo, s19
	s_delay_alu instid0(VALU_DEP_1) | instskip(NEXT) | instid1(VALU_DEP_2)
	v_dual_lshlrev_b32 v3, 16, v4 :: v_dual_lshlrev_b32 v2, 20, v2
	v_lshl_add_u32 v119, v119, 23, 0x3c000000
	s_delay_alu instid0(VALU_DEP_2) | instskip(NEXT) | instid1(VALU_DEP_1)
	v_and_b32_e32 v3, 0x80000000, v3
	v_or3_b32 v119, v2, v3, v119
.LBB0_1161:                             ;   in Loop: Header=BB0_799 Depth=2
	s_or_b32 exec_lo, exec_lo, s18
.LBB0_1162:                             ;   in Loop: Header=BB0_799 Depth=2
	s_delay_alu instid0(SALU_CYCLE_1)
	s_or_b32 exec_lo, exec_lo, s17
.LBB0_1163:                             ;   in Loop: Header=BB0_799 Depth=2
	s_delay_alu instid0(SALU_CYCLE_1) | instskip(SKIP_2) | instid1(VALU_DEP_1)
	s_or_b32 exec_lo, exec_lo, s7
	v_lshrrev_b16 v2, 8, v5
	s_mov_b32 s7, exec_lo
	v_cmpx_ne_u16_e32 0, v2
	s_cbranch_execz .LBB0_1171
; %bb.1164:                             ;   in Loop: Header=BB0_799 Depth=2
	v_bfrev_b32_e32 v118, 1
	s_mov_b32 s17, exec_lo
	v_cmpx_ne_u16_e32 0x80, v2
	s_cbranch_execz .LBB0_1170
; %bb.1165:                             ;   in Loop: Header=BB0_799 Depth=2
	v_and_b32_e32 v2, 0xffff, v2
	v_mov_b32_e32 v118, 0x7f800001
	s_mov_b32 s18, exec_lo
	s_delay_alu instid0(VALU_DEP_2) | instskip(NEXT) | instid1(VALU_DEP_1)
	v_and_b32_e32 v45, 0x7f, v2
	v_cmpx_ne_u32_e32 0x7f, v45
	s_cbranch_execz .LBB0_1169
; %bb.1166:                             ;   in Loop: Header=BB0_799 Depth=2
	v_dual_mov_b32 v3, v65 :: v_dual_bitop2_b32 v2, 7, v2 bitop3:0x40
	v_lshrrev_b32_e32 v118, 3, v45
	s_mov_b32 s19, exec_lo
	v_cmpx_gt_u32_e32 8, v45
; %bb.1167:                             ;   in Loop: Header=BB0_799 Depth=2
	s_delay_alu instid0(VALU_DEP_3) | instskip(NEXT) | instid1(VALU_DEP_1)
	v_clz_i32_u32_e32 v118, v2
	v_min_u32_e32 v118, 32, v118
	s_delay_alu instid0(VALU_DEP_1) | instskip(SKIP_1) | instid1(VALU_DEP_2)
	v_subrev_nc_u32_e32 v45, 28, v118
	v_sub_nc_u32_e32 v118, 29, v118
	v_lshlrev_b64_e32 v[2:3], v45, v[2:3]
	s_delay_alu instid0(VALU_DEP_1)
	v_and_b32_e32 v2, 7, v2
; %bb.1168:                             ;   in Loop: Header=BB0_799 Depth=2
	s_or_b32 exec_lo, exec_lo, s19
	s_delay_alu instid0(VALU_DEP_1) | instskip(SKIP_1) | instid1(VALU_DEP_2)
	v_dual_lshlrev_b32 v3, 16, v5 :: v_dual_lshlrev_b32 v2, 20, v2
	v_lshl_add_u32 v5, v118, 23, 0x3c000000
	v_and_b32_e32 v3, 0x80000000, v3
	s_delay_alu instid0(VALU_DEP_1)
	v_or3_b32 v118, v2, v3, v5
.LBB0_1169:                             ;   in Loop: Header=BB0_799 Depth=2
	s_or_b32 exec_lo, exec_lo, s18
.LBB0_1170:                             ;   in Loop: Header=BB0_799 Depth=2
	s_delay_alu instid0(SALU_CYCLE_1)
	s_or_b32 exec_lo, exec_lo, s17
.LBB0_1171:                             ;   in Loop: Header=BB0_799 Depth=2
	s_delay_alu instid0(SALU_CYCLE_1) | instskip(NEXT) | instid1(VALU_DEP_1)
	s_or_b32 exec_lo, exec_lo, s7
	v_dual_add_f32 v2, v119, v118 :: v_dual_mov_b32 v119, v65
                                        ; implicit-def: $vgpr45
	s_mov_b32 s7, exec_lo
	s_delay_alu instid0(VALU_DEP_1) | instskip(SKIP_1) | instid1(VALU_DEP_2)
	v_and_b32_e32 v118, 0x7f800000, v2
	v_lshrrev_b32_e32 v3, 24, v2
	v_cmpx_ne_u64_e32 0x7f800000, v[118:119]
	s_xor_b32 s17, exec_lo, s7
	s_cbranch_execz .LBB0_1185
; %bb.1172:                             ;   in Loop: Header=BB0_799 Depth=2
	v_and_b32_e32 v118, 0x7fffffff, v2
	v_mov_b32_e32 v119, v65
	v_and_b32_e32 v5, 0x80, v3
                                        ; implicit-def: $vgpr45
	s_mov_b32 s7, exec_lo
	s_delay_alu instid0(VALU_DEP_2)
	v_cmpx_gt_u64_e32 0x43e00001, v[118:119]
	s_xor_b32 s18, exec_lo, s7
	s_cbranch_execz .LBB0_1182
; %bb.1173:                             ;   in Loop: Header=BB0_799 Depth=2
	v_mov_b32_e32 v45, 0
	s_mov_b32 s19, exec_lo
	v_cmpx_ne_u32_e32 0, v2
	s_cbranch_execz .LBB0_1181
; %bb.1174:                             ;   in Loop: Header=BB0_799 Depth=2
	v_bfe_u32 v45, v2, 23, 8
	v_and_b32_e32 v118, 0x7fffff, v2
	s_mov_b32 s20, exec_lo
	s_delay_alu instid0(VALU_DEP_2) | instskip(NEXT) | instid1(VALU_DEP_2)
	v_cmp_gt_u32_e32 vcc_lo, 0x7a, v45
	v_or_b32_e32 v119, 0x800000, v118
	v_sub_nc_u32_e32 v3, 0x79, v45
	s_delay_alu instid0(VALU_DEP_1) | instskip(SKIP_1) | instid1(VALU_DEP_2)
	v_cndmask_b32_e32 v3, 0, v3, vcc_lo
	v_cmp_eq_u32_e32 vcc_lo, 0, v45
	v_cndmask_b32_e64 v46, v3, 0x78, vcc_lo
	v_dual_cndmask_b32 v118, v119, v118 :: v_dual_mov_b32 v119, v65
	s_delay_alu instid0(VALU_DEP_2) | instskip(NEXT) | instid1(VALU_DEP_1)
	v_dual_add_nc_u32 v47, 19, v46 :: v_dual_add_nc_u32 v2, 20, v46
	v_lshlrev_b64_e64 v[60:61], v47, 1
	s_delay_alu instid0(VALU_DEP_2) | instskip(NEXT) | instid1(VALU_DEP_1)
	v_lshlrev_b64_e64 v[2:3], v2, -1
	v_bfi_b32 v63, v3, 0, 0
	s_delay_alu instid0(VALU_DEP_2) | instskip(SKIP_1) | instid1(VALU_DEP_1)
	v_bfi_b32 v62, v2, 0, v118
	v_lshrrev_b64 v[2:3], v46, v[118:119]
	v_mov_b64_e32 v[118:119], v[2:3]
	s_delay_alu instid0(VALU_DEP_3)
	v_cmpx_eq_u64_e64 v[62:63], v[60:61]
; %bb.1175:                             ;   in Loop: Header=BB0_799 Depth=2
	v_bfe_u32 v118, v2, 20, 1
	v_mov_b32_e32 v119, v65
	s_delay_alu instid0(VALU_DEP_1) | instskip(NEXT) | instid1(VALU_DEP_1)
	v_add_nc_u64_e32 v[118:119], v[2:3], v[118:119]
	v_add_nc_u64_e32 v[118:119], -1, v[118:119]
; %bb.1176:                             ;   in Loop: Header=BB0_799 Depth=2
	s_or_b32 exec_lo, exec_lo, s20
	v_add_nc_u32_e32 v3, 0xffffff81, v45
	v_lshrrev_b32_e32 v119, 23, v2
	s_mov_b32 s7, exec_lo
	s_delay_alu instid0(VALU_DEP_2) | instskip(NEXT) | instid1(VALU_DEP_1)
	v_cndmask_b32_e64 v3, v3, 0xffffff82, vcc_lo
	v_add3_u32 v119, v46, v3, v119
	v_and_b32_e32 v3, 0xfffff, v118
                                        ; implicit-def: $vgpr118
	s_delay_alu instid0(VALU_DEP_1) | instskip(SKIP_1) | instid1(VALU_DEP_2)
	v_dual_add_nc_u32 v45, 6, v119 :: v_dual_add_nc_u32 v2, v3, v2
	v_mov_b32_e32 v3, v65
	v_cmpx_ne_u32_e32 0, v45
	s_xor_b32 s7, exec_lo, s7
; %bb.1177:                             ;   in Loop: Header=BB0_799 Depth=2
	s_delay_alu instid0(VALU_DEP_2) | instskip(SKIP_2) | instid1(VALU_DEP_2)
	v_cmp_lt_u64_e32 vcc_lo, 0xffffff, v[2:3]
	v_add_nc_u32_e32 v118, 7, v119
	v_cndmask_b32_e64 v119, 0, 1, vcc_lo
	v_cndmask_b32_e32 v118, v45, v118, vcc_lo
	s_delay_alu instid0(VALU_DEP_2)
	v_lshrrev_b64 v[2:3], v119, v[2:3]
; %bb.1178:                             ;   in Loop: Header=BB0_799 Depth=2
	s_and_not1_saveexec_b32 s7, s7
; %bb.1179:                             ;   in Loop: Header=BB0_799 Depth=2
	s_delay_alu instid0(VALU_DEP_1)
	v_bfe_u32 v118, v2, 23, 1
; %bb.1180:                             ;   in Loop: Header=BB0_799 Depth=2
	s_or_b32 exec_lo, exec_lo, s7
	s_delay_alu instid0(VALU_DEP_2) | instskip(NEXT) | instid1(VALU_DEP_2)
	v_lshrrev_b64 v[2:3], 20, v[2:3]
	v_cmp_gt_i32_e32 vcc_lo, 16, v118
	v_min_i32_e32 v119, 15, v118
	v_cmp_eq_u32_e64 s7, 0, v118
	s_delay_alu instid0(VALU_DEP_4) | instskip(NEXT) | instid1(VALU_DEP_3)
	v_cndmask_b32_e32 v3, 0, v3, vcc_lo
	v_dual_cndmask_b32 v2, 7, v2 :: v_dual_lshlrev_b32 v119, 3, v119
	s_delay_alu instid0(VALU_DEP_1) | instskip(NEXT) | instid1(VALU_DEP_2)
	v_and_b32_e32 v119, 0xf8, v119
	v_cmp_eq_u64_e32 vcc_lo, 0, v[2:3]
	s_delay_alu instid0(VALU_DEP_2)
	v_and_or_b32 v2, v2, 7, v119
	s_and_b32 s7, s7, vcc_lo
	s_delay_alu instid0(VALU_DEP_1) | instid1(SALU_CYCLE_1)
	v_cndmask_b32_e64 v2, v2, 0, s7
	s_delay_alu instid0(VALU_DEP_1)
	v_or_b32_e32 v45, v2, v5
.LBB0_1181:                             ;   in Loop: Header=BB0_799 Depth=2
	s_or_b32 exec_lo, exec_lo, s19
                                        ; implicit-def: $vgpr5
.LBB0_1182:                             ;   in Loop: Header=BB0_799 Depth=2
	s_and_not1_saveexec_b32 s7, s18
; %bb.1183:                             ;   in Loop: Header=BB0_799 Depth=2
	v_or_b32_e32 v45, 0x7e, v5
; %bb.1184:                             ;   in Loop: Header=BB0_799 Depth=2
	s_or_b32 exec_lo, exec_lo, s7
                                        ; implicit-def: $vgpr3
.LBB0_1185:                             ;   in Loop: Header=BB0_799 Depth=2
	s_and_not1_saveexec_b32 s7, s17
; %bb.1186:                             ;   in Loop: Header=BB0_799 Depth=2
	v_or_b32_e32 v45, 0x7f, v3
; %bb.1187:                             ;   in Loop: Header=BB0_799 Depth=2
	s_or_b32 exec_lo, exec_lo, s7
	v_dual_lshrrev_b32 v119, 16, v4 :: v_dual_mov_b32 v5, 0
	v_mov_b32_e32 v118, 0
	s_mov_b32 s7, exec_lo
	s_delay_alu instid0(VALU_DEP_2) | instskip(NEXT) | instid1(VALU_DEP_1)
	v_and_b32_e32 v2, 0xff, v119
	v_cmpx_ne_u16_e32 0, v2
	s_cbranch_execz .LBB0_1195
; %bb.1188:                             ;   in Loop: Header=BB0_799 Depth=2
	v_bfrev_b32_e32 v118, 1
	s_mov_b32 s17, exec_lo
	v_cmpx_ne_u16_e32 0x80, v2
	s_cbranch_execz .LBB0_1194
; %bb.1189:                             ;   in Loop: Header=BB0_799 Depth=2
	v_bfe_u32 v46, v4, 16, 7
	v_mov_b32_e32 v118, 0x7f800001
	s_mov_b32 s18, exec_lo
	s_delay_alu instid0(VALU_DEP_2)
	v_cmpx_ne_u32_e32 0x7f, v46
	s_cbranch_execz .LBB0_1193
; %bb.1190:                             ;   in Loop: Header=BB0_799 Depth=2
	v_dual_mov_b32 v3, v65 :: v_dual_bitop2_b32 v2, 7, v119 bitop3:0x40
	v_lshrrev_b32_e32 v118, 3, v46
	s_mov_b32 s19, exec_lo
	v_cmpx_gt_u32_e32 8, v46
; %bb.1191:                             ;   in Loop: Header=BB0_799 Depth=2
	s_delay_alu instid0(VALU_DEP_3) | instskip(NEXT) | instid1(VALU_DEP_1)
	v_clz_i32_u32_e32 v118, v2
	v_min_u32_e32 v118, 32, v118
	s_delay_alu instid0(VALU_DEP_1) | instskip(SKIP_1) | instid1(VALU_DEP_2)
	v_subrev_nc_u32_e32 v46, 28, v118
	v_sub_nc_u32_e32 v118, 29, v118
	v_lshlrev_b64_e32 v[2:3], v46, v[2:3]
	s_delay_alu instid0(VALU_DEP_1)
	v_and_b32_e32 v2, 7, v2
; %bb.1192:                             ;   in Loop: Header=BB0_799 Depth=2
	s_or_b32 exec_lo, exec_lo, s19
	s_delay_alu instid0(VALU_DEP_1) | instskip(SKIP_1) | instid1(VALU_DEP_2)
	v_dual_lshlrev_b32 v3, 24, v119 :: v_dual_lshlrev_b32 v2, 20, v2
	v_lshl_add_u32 v118, v118, 23, 0x3c000000
	v_and_b32_e32 v3, 0x80000000, v3
	s_delay_alu instid0(VALU_DEP_1)
	v_or3_b32 v118, v2, v3, v118
.LBB0_1193:                             ;   in Loop: Header=BB0_799 Depth=2
	s_or_b32 exec_lo, exec_lo, s18
.LBB0_1194:                             ;   in Loop: Header=BB0_799 Depth=2
	s_delay_alu instid0(SALU_CYCLE_1)
	s_or_b32 exec_lo, exec_lo, s17
.LBB0_1195:                             ;   in Loop: Header=BB0_799 Depth=2
	s_delay_alu instid0(SALU_CYCLE_1) | instskip(SKIP_2) | instid1(VALU_DEP_1)
	s_or_b32 exec_lo, exec_lo, s7
	v_lshrrev_b32_e32 v2, 16, v64
	s_mov_b32 s7, exec_lo
	v_and_b32_e32 v3, 0xff, v2
	s_delay_alu instid0(VALU_DEP_1)
	v_cmpx_ne_u16_e32 0, v3
	s_cbranch_execz .LBB0_1203
; %bb.1196:                             ;   in Loop: Header=BB0_799 Depth=2
	v_bfrev_b32_e32 v5, 1
	s_mov_b32 s17, exec_lo
	v_cmpx_ne_u16_e32 0x80, v3
	s_cbranch_execz .LBB0_1202
; %bb.1197:                             ;   in Loop: Header=BB0_799 Depth=2
	v_bfe_u32 v119, v64, 16, 7
	v_mov_b32_e32 v5, 0x7f800001
	s_mov_b32 s18, exec_lo
	s_delay_alu instid0(VALU_DEP_2)
	v_cmpx_ne_u32_e32 0x7f, v119
	s_cbranch_execz .LBB0_1201
; %bb.1198:                             ;   in Loop: Header=BB0_799 Depth=2
	v_dual_mov_b32 v3, v65 :: v_dual_bitop2_b32 v2, 7, v2 bitop3:0x40
	v_lshrrev_b32_e32 v5, 3, v119
	s_mov_b32 s19, exec_lo
	v_cmpx_gt_u32_e32 8, v119
; %bb.1199:                             ;   in Loop: Header=BB0_799 Depth=2
	s_delay_alu instid0(VALU_DEP_3) | instskip(NEXT) | instid1(VALU_DEP_1)
	v_clz_i32_u32_e32 v5, v2
	v_min_u32_e32 v5, 32, v5
	s_delay_alu instid0(VALU_DEP_1) | instskip(NEXT) | instid1(VALU_DEP_1)
	v_subrev_nc_u32_e32 v119, 28, v5
	v_lshlrev_b64_e32 v[2:3], v119, v[2:3]
	s_delay_alu instid0(VALU_DEP_1)
	v_dual_sub_nc_u32 v5, 29, v5 :: v_dual_bitop2_b32 v2, 7, v2 bitop3:0x40
; %bb.1200:                             ;   in Loop: Header=BB0_799 Depth=2
	s_or_b32 exec_lo, exec_lo, s19
	s_delay_alu instid0(VALU_DEP_1) | instskip(NEXT) | instid1(VALU_DEP_2)
	v_dual_lshlrev_b32 v3, 8, v64 :: v_dual_lshlrev_b32 v2, 20, v2
	v_lshl_add_u32 v5, v5, 23, 0x3c000000
	s_delay_alu instid0(VALU_DEP_2) | instskip(NEXT) | instid1(VALU_DEP_1)
	v_and_b32_e32 v3, 0x80000000, v3
	v_or3_b32 v5, v2, v3, v5
.LBB0_1201:                             ;   in Loop: Header=BB0_799 Depth=2
	s_or_b32 exec_lo, exec_lo, s18
.LBB0_1202:                             ;   in Loop: Header=BB0_799 Depth=2
	s_delay_alu instid0(SALU_CYCLE_1)
	s_or_b32 exec_lo, exec_lo, s17
.LBB0_1203:                             ;   in Loop: Header=BB0_799 Depth=2
	s_delay_alu instid0(SALU_CYCLE_1) | instskip(NEXT) | instid1(VALU_DEP_1)
	s_or_b32 exec_lo, exec_lo, s7
	v_dual_add_f32 v2, v118, v5 :: v_dual_mov_b32 v119, v65
	s_delay_alu instid0(VALU_DEP_1) | instskip(SKIP_1) | instid1(VALU_DEP_2)
	v_and_b32_e32 v118, 0x7f800000, v2
	v_lshrrev_b32_e32 v3, 24, v2
	v_cmp_ne_u64_e32 vcc_lo, 0x7f800000, v[118:119]
                                        ; implicit-def: $vgpr118
	s_and_saveexec_b32 s7, vcc_lo
	s_delay_alu instid0(SALU_CYCLE_1)
	s_xor_b32 s17, exec_lo, s7
	s_cbranch_execz .LBB0_1217
; %bb.1204:                             ;   in Loop: Header=BB0_799 Depth=2
	v_and_b32_e32 v118, 0x7fffffff, v2
	v_mov_b32_e32 v119, v65
	v_and_b32_e32 v5, 0x80, v3
	s_delay_alu instid0(VALU_DEP_2) | instskip(SKIP_1) | instid1(SALU_CYCLE_1)
	v_cmp_gt_u64_e32 vcc_lo, 0x43e00001, v[118:119]
                                        ; implicit-def: $vgpr118
	s_and_saveexec_b32 s7, vcc_lo
	s_xor_b32 s18, exec_lo, s7
	s_cbranch_execz .LBB0_1214
; %bb.1205:                             ;   in Loop: Header=BB0_799 Depth=2
	v_mov_b32_e32 v118, 0
	s_mov_b32 s19, exec_lo
	v_cmpx_ne_u32_e32 0, v2
	s_cbranch_execz .LBB0_1213
; %bb.1206:                             ;   in Loop: Header=BB0_799 Depth=2
	v_bfe_u32 v46, v2, 23, 8
	v_and_b32_e32 v118, 0x7fffff, v2
	s_mov_b32 s20, exec_lo
	s_delay_alu instid0(VALU_DEP_2) | instskip(SKIP_1) | instid1(VALU_DEP_3)
	v_sub_nc_u32_e32 v3, 0x79, v46
	v_cmp_gt_u32_e32 vcc_lo, 0x7a, v46
	v_or_b32_e32 v119, 0x800000, v118
	s_delay_alu instid0(VALU_DEP_3) | instskip(SKIP_1) | instid1(VALU_DEP_3)
	v_cndmask_b32_e32 v3, 0, v3, vcc_lo
	v_cmp_eq_u32_e32 vcc_lo, 0, v46
	v_cndmask_b32_e32 v118, v119, v118, vcc_lo
	s_delay_alu instid0(VALU_DEP_3) | instskip(NEXT) | instid1(VALU_DEP_1)
	v_cndmask_b32_e64 v47, v3, 0x78, vcc_lo
	v_dual_mov_b32 v119, v65 :: v_dual_add_nc_u32 v2, 20, v47
	v_add_nc_u32_e32 v59, 19, v47
	s_delay_alu instid0(VALU_DEP_2) | instskip(NEXT) | instid1(VALU_DEP_2)
	v_lshlrev_b64_e64 v[2:3], v2, -1
	v_lshlrev_b64_e64 v[60:61], v59, 1
	s_delay_alu instid0(VALU_DEP_2) | instskip(NEXT) | instid1(VALU_DEP_3)
	v_bfi_b32 v63, v3, 0, 0
	v_bfi_b32 v62, v2, 0, v118
	v_lshrrev_b64 v[2:3], v47, v[118:119]
	s_delay_alu instid0(VALU_DEP_1) | instskip(NEXT) | instid1(VALU_DEP_3)
	v_mov_b64_e32 v[118:119], v[2:3]
	v_cmpx_eq_u64_e64 v[62:63], v[60:61]
; %bb.1207:                             ;   in Loop: Header=BB0_799 Depth=2
	v_bfe_u32 v118, v2, 20, 1
	v_mov_b32_e32 v119, v65
	s_delay_alu instid0(VALU_DEP_1) | instskip(NEXT) | instid1(VALU_DEP_1)
	v_add_nc_u64_e32 v[118:119], v[2:3], v[118:119]
	v_add_nc_u64_e32 v[118:119], -1, v[118:119]
; %bb.1208:                             ;   in Loop: Header=BB0_799 Depth=2
	s_or_b32 exec_lo, exec_lo, s20
	v_add_nc_u32_e32 v3, 0xffffff81, v46
	v_lshrrev_b32_e32 v119, 23, v2
	s_mov_b32 s7, exec_lo
	s_delay_alu instid0(VALU_DEP_2) | instskip(NEXT) | instid1(VALU_DEP_1)
	v_cndmask_b32_e64 v3, v3, 0xffffff82, vcc_lo
	v_add3_u32 v119, v47, v3, v119
	v_and_b32_e32 v3, 0xfffff, v118
                                        ; implicit-def: $vgpr118
	s_delay_alu instid0(VALU_DEP_1) | instskip(SKIP_1) | instid1(VALU_DEP_2)
	v_dual_add_nc_u32 v46, 6, v119 :: v_dual_add_nc_u32 v2, v3, v2
	v_mov_b32_e32 v3, v65
	v_cmpx_ne_u32_e32 0, v46
	s_xor_b32 s7, exec_lo, s7
; %bb.1209:                             ;   in Loop: Header=BB0_799 Depth=2
	s_delay_alu instid0(VALU_DEP_2) | instskip(SKIP_2) | instid1(VALU_DEP_2)
	v_cmp_lt_u64_e32 vcc_lo, 0xffffff, v[2:3]
	v_add_nc_u32_e32 v118, 7, v119
	v_cndmask_b32_e64 v119, 0, 1, vcc_lo
	v_cndmask_b32_e32 v118, v46, v118, vcc_lo
	s_delay_alu instid0(VALU_DEP_2)
	v_lshrrev_b64 v[2:3], v119, v[2:3]
; %bb.1210:                             ;   in Loop: Header=BB0_799 Depth=2
	s_and_not1_saveexec_b32 s7, s7
; %bb.1211:                             ;   in Loop: Header=BB0_799 Depth=2
	s_delay_alu instid0(VALU_DEP_1)
	v_bfe_u32 v118, v2, 23, 1
; %bb.1212:                             ;   in Loop: Header=BB0_799 Depth=2
	s_or_b32 exec_lo, exec_lo, s7
	s_delay_alu instid0(VALU_DEP_2) | instskip(NEXT) | instid1(VALU_DEP_2)
	v_lshrrev_b64 v[2:3], 20, v[2:3]
	v_cmp_gt_i32_e32 vcc_lo, 16, v118
	v_min_i32_e32 v119, 15, v118
	v_cmp_eq_u32_e64 s7, 0, v118
	s_delay_alu instid0(VALU_DEP_4) | instskip(NEXT) | instid1(VALU_DEP_3)
	v_cndmask_b32_e32 v3, 0, v3, vcc_lo
	v_dual_cndmask_b32 v2, 7, v2 :: v_dual_lshlrev_b32 v119, 3, v119
	s_delay_alu instid0(VALU_DEP_1) | instskip(NEXT) | instid1(VALU_DEP_2)
	v_and_b32_e32 v119, 0xf8, v119
	v_cmp_eq_u64_e32 vcc_lo, 0, v[2:3]
	s_delay_alu instid0(VALU_DEP_2)
	v_and_or_b32 v2, v2, 7, v119
	s_and_b32 s7, s7, vcc_lo
	s_delay_alu instid0(VALU_DEP_1) | instid1(SALU_CYCLE_1)
	v_cndmask_b32_e64 v2, v2, 0, s7
	s_delay_alu instid0(VALU_DEP_1)
	v_or_b32_e32 v118, v2, v5
.LBB0_1213:                             ;   in Loop: Header=BB0_799 Depth=2
	s_or_b32 exec_lo, exec_lo, s19
                                        ; implicit-def: $vgpr5
.LBB0_1214:                             ;   in Loop: Header=BB0_799 Depth=2
	s_and_not1_saveexec_b32 s7, s18
; %bb.1215:                             ;   in Loop: Header=BB0_799 Depth=2
	v_or_b32_e32 v118, 0x7e, v5
; %bb.1216:                             ;   in Loop: Header=BB0_799 Depth=2
	s_or_b32 exec_lo, exec_lo, s7
                                        ; implicit-def: $vgpr3
.LBB0_1217:                             ;   in Loop: Header=BB0_799 Depth=2
	s_and_not1_saveexec_b32 s7, s17
; %bb.1218:                             ;   in Loop: Header=BB0_799 Depth=2
	v_or_b32_e32 v118, 0x7f, v3
; %bb.1219:                             ;   in Loop: Header=BB0_799 Depth=2
	s_or_b32 exec_lo, exec_lo, s7
	v_and_b32_e32 v2, 0xff000000, v4
	v_dual_mov_b32 v3, v65 :: v_dual_mov_b32 v5, 0
	s_delay_alu instid0(VALU_DEP_1)
	v_cmp_ne_u64_e32 vcc_lo, 0, v[2:3]
	v_mov_b32_e32 v2, 0
	s_and_saveexec_b32 s7, vcc_lo
	s_cbranch_execz .LBB0_1227
; %bb.1220:                             ;   in Loop: Header=BB0_799 Depth=2
	v_lshrrev_b32_e32 v119, 24, v4
	v_bfrev_b32_e32 v2, 1
	s_mov_b32 s17, exec_lo
	s_delay_alu instid0(VALU_DEP_2)
	v_cmpx_ne_u32_e32 0x80, v119
	s_cbranch_execz .LBB0_1226
; %bb.1221:                             ;   in Loop: Header=BB0_799 Depth=2
	v_bfe_u32 v46, v4, 24, 7
	v_mov_b32_e32 v2, 0x7f800001
	s_mov_b32 s18, exec_lo
	s_delay_alu instid0(VALU_DEP_2)
	v_cmpx_ne_u32_e32 0x7f, v46
	s_cbranch_execz .LBB0_1225
; %bb.1222:                             ;   in Loop: Header=BB0_799 Depth=2
	v_dual_mov_b32 v3, v65 :: v_dual_bitop2_b32 v2, 7, v119 bitop3:0x40
	v_lshrrev_b32_e32 v4, 3, v46
	s_mov_b32 s19, exec_lo
	v_cmpx_gt_u32_e32 8, v46
; %bb.1223:                             ;   in Loop: Header=BB0_799 Depth=2
	s_delay_alu instid0(VALU_DEP_3) | instskip(NEXT) | instid1(VALU_DEP_1)
	v_clz_i32_u32_e32 v4, v2
	v_min_u32_e32 v4, 32, v4
	s_delay_alu instid0(VALU_DEP_1) | instskip(NEXT) | instid1(VALU_DEP_1)
	v_subrev_nc_u32_e32 v46, 28, v4
	v_lshlrev_b64_e32 v[2:3], v46, v[2:3]
	s_delay_alu instid0(VALU_DEP_1)
	v_dual_sub_nc_u32 v4, 29, v4 :: v_dual_bitop2_b32 v2, 7, v2 bitop3:0x40
; %bb.1224:                             ;   in Loop: Header=BB0_799 Depth=2
	s_or_b32 exec_lo, exec_lo, s19
	s_delay_alu instid0(VALU_DEP_1) | instskip(NEXT) | instid1(VALU_DEP_2)
	v_dual_lshlrev_b32 v3, 24, v119 :: v_dual_lshlrev_b32 v2, 20, v2
	v_lshl_add_u32 v4, v4, 23, 0x3c000000
	s_delay_alu instid0(VALU_DEP_2) | instskip(NEXT) | instid1(VALU_DEP_1)
	v_and_b32_e32 v3, 0x80000000, v3
	v_or3_b32 v2, v2, v3, v4
.LBB0_1225:                             ;   in Loop: Header=BB0_799 Depth=2
	s_or_b32 exec_lo, exec_lo, s18
.LBB0_1226:                             ;   in Loop: Header=BB0_799 Depth=2
	s_delay_alu instid0(SALU_CYCLE_1)
	s_or_b32 exec_lo, exec_lo, s17
.LBB0_1227:                             ;   in Loop: Header=BB0_799 Depth=2
	s_delay_alu instid0(SALU_CYCLE_1) | instskip(NEXT) | instid1(SALU_CYCLE_1)
	s_or_b32 exec_lo, exec_lo, s7
	s_mov_b32 s7, exec_lo
	v_cmpx_lt_u32_e32 0xffffff, v64
	s_cbranch_execz .LBB0_1235
; %bb.1228:                             ;   in Loop: Header=BB0_799 Depth=2
	v_lshrrev_b32_e32 v3, 24, v64
	v_bfrev_b32_e32 v5, 1
	s_mov_b32 s17, exec_lo
	s_delay_alu instid0(VALU_DEP_2)
	v_cmpx_ne_u32_e32 0x80, v3
	s_cbranch_execz .LBB0_1234
; %bb.1229:                             ;   in Loop: Header=BB0_799 Depth=2
	v_bfe_u32 v119, v64, 24, 7
	v_mov_b32_e32 v5, 0x7f800001
	s_mov_b32 s18, exec_lo
	s_delay_alu instid0(VALU_DEP_2)
	v_cmpx_ne_u32_e32 0x7f, v119
	s_cbranch_execz .LBB0_1233
; %bb.1230:                             ;   in Loop: Header=BB0_799 Depth=2
	v_and_b32_e32 v64, 7, v3
	v_lshrrev_b32_e32 v4, 3, v119
	s_mov_b32 s19, exec_lo
	v_cmpx_gt_u32_e32 8, v119
; %bb.1231:                             ;   in Loop: Header=BB0_799 Depth=2
	s_delay_alu instid0(VALU_DEP_3) | instskip(NEXT) | instid1(VALU_DEP_1)
	v_clz_i32_u32_e32 v4, v64
	v_min_u32_e32 v4, 32, v4
	s_delay_alu instid0(VALU_DEP_1) | instskip(NEXT) | instid1(VALU_DEP_1)
	v_subrev_nc_u32_e32 v5, 28, v4
	v_lshlrev_b64_e32 v[46:47], v5, v[64:65]
	s_delay_alu instid0(VALU_DEP_1)
	v_dual_sub_nc_u32 v4, 29, v4 :: v_dual_bitop2_b32 v64, 7, v46 bitop3:0x40
; %bb.1232:                             ;   in Loop: Header=BB0_799 Depth=2
	s_or_b32 exec_lo, exec_lo, s19
	s_delay_alu instid0(VALU_DEP_1) | instskip(NEXT) | instid1(VALU_DEP_2)
	v_dual_lshlrev_b32 v3, 24, v3 :: v_dual_lshlrev_b32 v5, 20, v64
	v_lshl_add_u32 v4, v4, 23, 0x3c000000
	s_delay_alu instid0(VALU_DEP_2) | instskip(NEXT) | instid1(VALU_DEP_1)
	v_and_b32_e32 v3, 0x80000000, v3
	v_or3_b32 v5, v5, v3, v4
.LBB0_1233:                             ;   in Loop: Header=BB0_799 Depth=2
	s_or_b32 exec_lo, exec_lo, s18
.LBB0_1234:                             ;   in Loop: Header=BB0_799 Depth=2
	s_delay_alu instid0(SALU_CYCLE_1)
	s_or_b32 exec_lo, exec_lo, s17
.LBB0_1235:                             ;   in Loop: Header=BB0_799 Depth=2
	s_delay_alu instid0(SALU_CYCLE_1) | instskip(NEXT) | instid1(VALU_DEP_1)
	s_or_b32 exec_lo, exec_lo, s7
	v_add_f32_e32 v3, v2, v5
                                        ; implicit-def: $vgpr2
	s_mov_b32 s7, exec_lo
	s_delay_alu instid0(VALU_DEP_1) | instskip(SKIP_1) | instid1(VALU_DEP_2)
	v_and_b32_e32 v64, 0x7f800000, v3
	v_lshrrev_b32_e32 v4, 24, v3
	v_cmpx_ne_u64_e32 0x7f800000, v[64:65]
	s_xor_b32 s17, exec_lo, s7
	s_cbranch_execz .LBB0_1249
; %bb.1236:                             ;   in Loop: Header=BB0_799 Depth=2
	v_and_b32_e32 v64, 0x7fffffff, v3
	v_and_b32_e32 v119, 0x80, v4
                                        ; implicit-def: $vgpr2
	s_mov_b32 s7, exec_lo
	s_delay_alu instid0(VALU_DEP_2)
	v_cmpx_gt_u64_e32 0x43e00001, v[64:65]
	s_xor_b32 s18, exec_lo, s7
	s_cbranch_execz .LBB0_1246
; %bb.1237:                             ;   in Loop: Header=BB0_799 Depth=2
	v_mov_b32_e32 v2, 0
	s_mov_b32 s19, exec_lo
	v_cmpx_ne_u32_e32 0, v3
	s_cbranch_execz .LBB0_1245
; %bb.1238:                             ;   in Loop: Header=BB0_799 Depth=2
	v_bfe_u32 v46, v3, 23, 8
	v_and_b32_e32 v4, 0x7fffff, v3
	s_delay_alu instid0(VALU_DEP_2) | instskip(SKIP_1) | instid1(VALU_DEP_3)
	v_sub_nc_u32_e32 v2, 0x79, v46
	v_cmp_gt_u32_e32 vcc_lo, 0x7a, v46
	v_or_b32_e32 v5, 0x800000, v4
	s_delay_alu instid0(VALU_DEP_3) | instskip(SKIP_1) | instid1(VALU_DEP_2)
	v_cndmask_b32_e32 v2, 0, v2, vcc_lo
	v_cmp_eq_u32_e32 vcc_lo, 0, v46
	v_cndmask_b32_e64 v47, v2, 0x78, vcc_lo
	s_delay_alu instid0(VALU_DEP_1) | instskip(SKIP_1) | instid1(VALU_DEP_2)
	v_dual_cndmask_b32 v64, v5, v4, vcc_lo :: v_dual_add_nc_u32 v2, 20, v47
	v_add_nc_u32_e32 v59, 19, v47
	v_lshlrev_b64_e64 v[2:3], v2, -1
	s_delay_alu instid0(VALU_DEP_2) | instskip(NEXT) | instid1(VALU_DEP_2)
	v_lshlrev_b64_e64 v[4:5], v59, 1
	v_bfi_b32 v61, v3, 0, 0
	s_delay_alu instid0(VALU_DEP_3) | instskip(SKIP_1) | instid1(VALU_DEP_2)
	v_bfi_b32 v60, v2, 0, v64
	v_lshrrev_b64 v[2:3], v47, v[64:65]
	v_cmp_eq_u64_e64 s7, v[60:61], v[4:5]
	s_delay_alu instid0(VALU_DEP_2)
	v_mov_b64_e32 v[4:5], v[2:3]
	s_and_saveexec_b32 s20, s7
; %bb.1239:                             ;   in Loop: Header=BB0_799 Depth=2
	v_bfe_u32 v64, v2, 20, 1
	s_delay_alu instid0(VALU_DEP_1) | instskip(NEXT) | instid1(VALU_DEP_1)
	v_add_nc_u64_e32 v[4:5], v[2:3], v[64:65]
	v_add_nc_u64_e32 v[4:5], -1, v[4:5]
; %bb.1240:                             ;   in Loop: Header=BB0_799 Depth=2
	s_or_b32 exec_lo, exec_lo, s20
	v_add_nc_u32_e32 v3, 0xffffff81, v46
	v_lshrrev_b32_e32 v5, 23, v2
	s_mov_b32 s7, exec_lo
	s_delay_alu instid0(VALU_DEP_2) | instskip(NEXT) | instid1(VALU_DEP_1)
	v_cndmask_b32_e64 v3, v3, 0xffffff82, vcc_lo
	v_add3_u32 v5, v47, v3, v5
	v_and_b32_e32 v3, 0xfffff, v4
                                        ; implicit-def: $vgpr4
	s_delay_alu instid0(VALU_DEP_1) | instskip(NEXT) | instid1(VALU_DEP_1)
	v_dual_add_nc_u32 v46, 6, v5 :: v_dual_add_nc_u32 v64, v3, v2
                                        ; implicit-def: $vgpr2_vgpr3
	v_cmpx_ne_u32_e32 0, v46
	s_xor_b32 s7, exec_lo, s7
; %bb.1241:                             ;   in Loop: Header=BB0_799 Depth=2
	s_delay_alu instid0(VALU_DEP_2) | instskip(SKIP_1) | instid1(VALU_DEP_1)
	v_cmp_lt_u64_e32 vcc_lo, 0xffffff, v[64:65]
	v_add_nc_u32_e32 v2, 7, v5
	v_cndmask_b32_e32 v4, v46, v2, vcc_lo
	v_cndmask_b32_e64 v2, 0, 1, vcc_lo
	s_delay_alu instid0(VALU_DEP_1)
	v_lshrrev_b64 v[2:3], v2, v[64:65]
; %bb.1242:                             ;   in Loop: Header=BB0_799 Depth=2
	s_and_not1_saveexec_b32 s7, s7
; %bb.1243:                             ;   in Loop: Header=BB0_799 Depth=2
	v_mov_b64_e32 v[2:3], v[64:65]
	v_bfe_u32 v4, v64, 23, 1
; %bb.1244:                             ;   in Loop: Header=BB0_799 Depth=2
	s_or_b32 exec_lo, exec_lo, s7
	s_delay_alu instid0(VALU_DEP_2) | instskip(NEXT) | instid1(VALU_DEP_2)
	v_lshrrev_b64 v[2:3], 20, v[2:3]
	v_cmp_gt_i32_e32 vcc_lo, 16, v4
	v_min_i32_e32 v5, 15, v4
	v_cmp_eq_u32_e64 s7, 0, v4
	s_delay_alu instid0(VALU_DEP_2) | instskip(SKIP_1) | instid1(VALU_DEP_2)
	v_dual_cndmask_b32 v3, 0, v3, vcc_lo :: v_dual_lshlrev_b32 v5, 3, v5
	v_cndmask_b32_e32 v2, 7, v2, vcc_lo
	v_and_b32_e32 v5, 0xf8, v5
	s_delay_alu instid0(VALU_DEP_2) | instskip(NEXT) | instid1(VALU_DEP_2)
	v_cmp_eq_u64_e32 vcc_lo, 0, v[2:3]
	v_and_or_b32 v2, v2, 7, v5
	s_and_b32 s7, s7, vcc_lo
	s_delay_alu instid0(VALU_DEP_1) | instid1(SALU_CYCLE_1)
	v_cndmask_b32_e64 v2, v2, 0, s7
	s_delay_alu instid0(VALU_DEP_1)
	v_or_b32_e32 v2, v2, v119
.LBB0_1245:                             ;   in Loop: Header=BB0_799 Depth=2
	s_or_b32 exec_lo, exec_lo, s19
                                        ; implicit-def: $vgpr119
.LBB0_1246:                             ;   in Loop: Header=BB0_799 Depth=2
	s_and_not1_saveexec_b32 s7, s18
; %bb.1247:                             ;   in Loop: Header=BB0_799 Depth=2
	v_or_b32_e32 v2, 0x7e, v119
; %bb.1248:                             ;   in Loop: Header=BB0_799 Depth=2
	s_or_b32 exec_lo, exec_lo, s7
                                        ; implicit-def: $vgpr4
.LBB0_1249:                             ;   in Loop: Header=BB0_799 Depth=2
	s_and_not1_saveexec_b32 s7, s17
; %bb.1250:                             ;   in Loop: Header=BB0_799 Depth=2
	v_or_b32_e32 v2, 0x7f, v4
; %bb.1251:                             ;   in Loop: Header=BB0_799 Depth=2
	s_or_b32 exec_lo, exec_lo, s7
	v_dual_lshlrev_b32 v3, 16, v40 :: v_dual_lshlrev_b32 v4, 16, v118
	s_delay_alu instid0(VALU_DEP_2) | instskip(SKIP_1) | instid1(VALU_DEP_3)
	v_dual_lshlrev_b32 v5, 24, v41 :: v_dual_lshlrev_b32 v64, 24, v2
	v_cmp_lt_u32_e32 vcc_lo, 7, v58
	v_lshl_or_b32 v2, v44, 8, v3
	s_delay_alu instid0(VALU_DEP_4) | instskip(SKIP_2) | instid1(VALU_DEP_2)
	v_lshl_or_b32 v3, v45, 8, v4
	s_mov_b32 s7, -1
	s_cmp_lg_u32 vcc_lo, exec_lo
	v_or3_b32 v2, v2, v5, v117
	s_delay_alu instid0(VALU_DEP_2)
	v_or3_b32 v3, v3, v64, v43
	s_cbranch_scc0 .LBB0_1267
; %bb.1252:                             ;   in Loop: Header=BB0_799 Depth=2
	s_mov_b32 s17, exec_lo
	flat_store_b8 v[18:19], v117
	s_wait_xcnt 0x0
	v_cmpx_ne_u32_e32 1, v58
	s_cbranch_execz .LBB0_1254
; %bb.1253:                             ;   in Loop: Header=BB0_799 Depth=2
	v_lshrrev_b32_e32 v4, 8, v2
	flat_store_b8 v[18:19], v4 offset:1
.LBB0_1254:                             ;   in Loop: Header=BB0_799 Depth=2
	s_wait_xcnt 0x0
	s_or_b32 exec_lo, exec_lo, s17
	s_delay_alu instid0(SALU_CYCLE_1)
	s_mov_b32 s17, exec_lo
	v_cmpx_lt_u32_e32 2, v58
	s_cbranch_execz .LBB0_1256
; %bb.1255:                             ;   in Loop: Header=BB0_799 Depth=2
	flat_store_d16_hi_b8 v[18:19], v2 offset:2
.LBB0_1256:                             ;   in Loop: Header=BB0_799 Depth=2
	s_wait_xcnt 0x0
	s_or_b32 exec_lo, exec_lo, s17
	s_delay_alu instid0(SALU_CYCLE_1)
	s_mov_b32 s17, exec_lo
	v_cmpx_lt_u32_e32 3, v58
	s_cbranch_execz .LBB0_1258
; %bb.1257:                             ;   in Loop: Header=BB0_799 Depth=2
	v_lshrrev_b32_e32 v4, 24, v2
	flat_store_b8 v[18:19], v4 offset:3
.LBB0_1258:                             ;   in Loop: Header=BB0_799 Depth=2
	s_wait_xcnt 0x0
	s_or_b32 exec_lo, exec_lo, s17
	s_delay_alu instid0(SALU_CYCLE_1)
	s_mov_b32 s17, exec_lo
	v_cmpx_lt_u32_e32 4, v58
	s_cbranch_execz .LBB0_1260
; %bb.1259:                             ;   in Loop: Header=BB0_799 Depth=2
	flat_store_b8 v[18:19], v43 offset:4
.LBB0_1260:                             ;   in Loop: Header=BB0_799 Depth=2
	s_wait_xcnt 0x0
	s_or_b32 exec_lo, exec_lo, s17
	s_delay_alu instid0(SALU_CYCLE_1)
	s_mov_b32 s17, exec_lo
	v_cmpx_lt_u32_e32 5, v58
	s_cbranch_execz .LBB0_1262
; %bb.1261:                             ;   in Loop: Header=BB0_799 Depth=2
	v_lshrrev_b32_e32 v4, 8, v3
	flat_store_b8 v[18:19], v4 offset:5
.LBB0_1262:                             ;   in Loop: Header=BB0_799 Depth=2
	s_wait_xcnt 0x0
	s_or_b32 exec_lo, exec_lo, s17
	s_delay_alu instid0(SALU_CYCLE_1)
	s_mov_b32 s17, exec_lo
	v_cmpx_lt_u32_e32 6, v58
	s_cbranch_execz .LBB0_1264
; %bb.1263:                             ;   in Loop: Header=BB0_799 Depth=2
	flat_store_d16_hi_b8 v[18:19], v3 offset:6
.LBB0_1264:                             ;   in Loop: Header=BB0_799 Depth=2
	s_wait_xcnt 0x0
	s_or_b32 exec_lo, exec_lo, s17
	s_and_saveexec_b32 s7, vcc_lo
	s_cbranch_execz .LBB0_1266
; %bb.1265:                             ;   in Loop: Header=BB0_799 Depth=2
	v_lshrrev_b32_e32 v4, 24, v3
	flat_store_b8 v[18:19], v4 offset:7
.LBB0_1266:                             ;   in Loop: Header=BB0_799 Depth=2
	s_wait_xcnt 0x0
	s_or_b32 exec_lo, exec_lo, s7
	s_mov_b32 s7, 0
.LBB0_1267:                             ;   in Loop: Header=BB0_799 Depth=2
	s_delay_alu instid0(SALU_CYCLE_1)
	s_and_b32 vcc_lo, exec_lo, s7
	s_cbranch_vccz .LBB0_798
; %bb.1268:                             ;   in Loop: Header=BB0_799 Depth=2
	global_store_b64 v[18:19], v[2:3], off
	s_branch .LBB0_798
.LBB0_1269:                             ;   in Loop: Header=BB0_42 Depth=1
	s_or_b32 exec_lo, exec_lo, s16
	s_delay_alu instid0(SALU_CYCLE_1)
	s_or_b32 exec_lo, exec_lo, s8
	s_and_saveexec_b32 s7, s3
	s_cbranch_execz .LBB0_796
.LBB0_1270:                             ;   in Loop: Header=BB0_42 Depth=1
	s_and_saveexec_b32 s8, s4
	s_delay_alu instid0(SALU_CYCLE_1)
	s_xor_b32 s8, exec_lo, s8
	s_cbranch_execz .LBB0_1285
; %bb.1271:                             ;   in Loop: Header=BB0_42 Depth=1
	s_and_saveexec_b32 s16, s5
	s_cbranch_execz .LBB0_1284
; %bb.1272:                             ;   in Loop: Header=BB0_42 Depth=1
	s_mov_b32 s18, exec_lo
	s_mov_b32 s17, exec_lo
	v_mbcnt_lo_u32_b32 v2, s18, 0
	global_wb scope:SCOPE_DEV
	s_wait_storecnt_dscnt 0x0
	global_inv scope:SCOPE_DEV
	v_cmpx_eq_u32_e32 0, v2
	s_cbranch_execz .LBB0_1274
; %bb.1273:                             ;   in Loop: Header=BB0_42 Depth=1
	s_bcnt1_i32_b32 s18, s18
	s_delay_alu instid0(SALU_CYCLE_1)
	v_mov_b32_e32 v64, s18
	s_wait_loadcnt 0x0
	ds_add_u64 v0, v[64:65]
	s_trap 2
.LBB0_1274:                             ;   in Loop: Header=BB0_42 Depth=1
	s_or_b32 exec_lo, exec_lo, s17
	s_trap 2
	ds_load_b64 v[2:3], v0
	s_wait_dscnt 0x0
	v_add_nc_u64_e32 v[52:53], v[52:53], v[82:83]
	s_mov_b32 s17, exec_lo
	s_delay_alu instid0(VALU_DEP_1)
	v_cmpx_lt_u64_e64 v[2:3], v[52:53]
	s_cbranch_execz .LBB0_1283
; %bb.1275:                             ;   in Loop: Header=BB0_42 Depth=1
	s_mov_b32 s18, 0
	s_mov_b32 s21, 0
                                        ; implicit-def: $sgpr19
                                        ; implicit-def: $sgpr20
	s_branch .LBB0_1277
.LBB0_1276:                             ;   in Loop: Header=BB0_1277 Depth=2
	s_or_b32 exec_lo, exec_lo, s23
	s_delay_alu instid0(SALU_CYCLE_1) | instskip(NEXT) | instid1(SALU_CYCLE_1)
	s_and_b32 s22, exec_lo, s24
	s_or_b32 s18, s22, s18
	s_and_not1_b32 s19, s19, exec_lo
	s_and_b32 s22, s20, exec_lo
	s_delay_alu instid0(SALU_CYCLE_1)
	s_or_b32 s19, s19, s22
	s_and_not1_b32 exec_lo, exec_lo, s18
	s_cbranch_execz .LBB0_1281
.LBB0_1277:                             ;   Parent Loop BB0_42 Depth=1
                                        ; =>  This Inner Loop Header: Depth=2
	s_add_co_i32 s21, s21, 1
	s_delay_alu instid0(SALU_CYCLE_1) | instskip(SKIP_1) | instid1(SALU_CYCLE_1)
	s_cmp_lg_u32 s21, 0x2710
	s_cselect_b32 s22, -1, 0
	s_and_b32 vcc_lo, exec_lo, s22
	s_cbranch_vccz .LBB0_1279
; %bb.1278:                             ;   in Loop: Header=BB0_1277 Depth=2
	s_mov_b32 s24, -1
	s_or_b32 s20, s20, exec_lo
	s_and_saveexec_b32 s23, s22
	s_cbranch_execz .LBB0_1276
	s_branch .LBB0_1280
.LBB0_1279:                             ;   in Loop: Header=BB0_1277 Depth=2
	s_trap 2
	ds_load_b64 v[2:3], v0
	s_and_not1_b32 s22, s22, exec_lo
	s_mov_b32 s21, 0
	s_wait_loadcnt_dscnt 0x0
	flat_load_b32 v2, v[2:3] scope:SCOPE_SYS
	s_wait_loadcnt_dscnt 0x0
	global_inv scope:SCOPE_SYS
	v_cmp_eq_u32_e32 vcc_lo, 0, v2
	s_and_b32 s23, vcc_lo, exec_lo
	s_delay_alu instid0(SALU_CYCLE_1)
	s_or_b32 s22, s22, s23
	s_mov_b32 s24, -1
	s_or_b32 s20, s20, exec_lo
	s_and_saveexec_b32 s23, s22
	s_cbranch_execz .LBB0_1276
.LBB0_1280:                             ;   in Loop: Header=BB0_1277 Depth=2
	s_sleep 1
	s_trap 2
	ds_load_b64 v[2:3], v0
	s_wait_dscnt 0x0
	s_and_not1_b32 s20, s20, exec_lo
	v_cmp_ge_u64_e32 vcc_lo, v[2:3], v[52:53]
	s_or_not1_b32 s24, vcc_lo, exec_lo
	s_branch .LBB0_1276
.LBB0_1281:                             ;   in Loop: Header=BB0_42 Depth=1
	s_or_b32 exec_lo, exec_lo, s18
	s_and_saveexec_b32 s18, s19
	s_delay_alu instid0(SALU_CYCLE_1)
	s_xor_b32 s18, exec_lo, s18
	s_cbranch_execz .LBB0_1283
; %bb.1282:                             ;   in Loop: Header=BB0_42 Depth=1
	ds_store_b32 v0, v1
	s_trap 2
.LBB0_1283:                             ;   in Loop: Header=BB0_42 Depth=1
	s_or_b32 exec_lo, exec_lo, s17
	;;#ASMSTART
	s_wakeup
	;;#ASMEND
.LBB0_1284:                             ;   in Loop: Header=BB0_42 Depth=1
	s_or_b32 exec_lo, exec_lo, s16
.LBB0_1285:                             ;   in Loop: Header=BB0_42 Depth=1
	s_and_not1_saveexec_b32 s8, s8
	s_cbranch_execz .LBB0_1287
; %bb.1286:                             ;   in Loop: Header=BB0_42 Depth=1
	global_wb scope:SCOPE_DEV
	s_wait_storecnt 0x0
	s_wait_loadcnt_dscnt 0x0
	global_inv scope:SCOPE_DEV
	s_barrier_signal -1
	s_barrier_wait -1
.LBB0_1287:                             ;   in Loop: Header=BB0_42 Depth=1
	s_or_b32 exec_lo, exec_lo, s8
	s_delay_alu instid0(SALU_CYCLE_1)
	s_or_b32 exec_lo, exec_lo, s7
	s_and_saveexec_b32 s7, s6
	s_cbranch_execz .LBB0_41
.LBB0_1288:                             ;   in Loop: Header=BB0_42 Depth=1
	v_add_nc_u64_e32 v[38:39], 1, v[38:39]
	global_wb scope:SCOPE_SYS
	s_wait_storecnt 0x0
	s_wait_loadcnt_dscnt 0x0
	flat_store_b64 v[48:49], v[38:39] scope:SCOPE_SYS
	s_branch .LBB0_41
.LBB0_1289:
	s_or_b32 exec_lo, exec_lo, s14
	s_delay_alu instid0(SALU_CYCLE_1)
	s_or_b32 exec_lo, exec_lo, s12
	s_and_saveexec_b32 s1, s9
	s_cbranch_execz .LBB0_26
.LBB0_1290:
	s_wait_dscnt 0x0
	flat_store_b64 v[28:29], v[38:39] offset:104
	s_wait_xcnt 0x0
	s_or_b32 exec_lo, exec_lo, s1
	s_and_saveexec_b32 s1, s0
	s_cbranch_execnz .LBB0_27
	s_branch .LBB0_28
.LBB0_1291:
	s_or_b32 exec_lo, exec_lo, s4
	s_and_saveexec_b32 s4, s5
	s_delay_alu instid0(SALU_CYCLE_1)
	s_xor_b32 s4, exec_lo, s4
	s_cbranch_execz .LBB0_1293
; %bb.1292:
	v_mov_b32_e32 v0, 1
	ds_store_b32 v0, v0
	s_trap 2
.LBB0_1293:
	s_or_b32 exec_lo, exec_lo, s3
	;;#ASMSTART
	s_wakeup
	;;#ASMEND
.LBB0_1294:
	s_or_b32 exec_lo, exec_lo, s2
.LBB0_1295:
	s_and_not1_saveexec_b32 s1, s1
	s_cbranch_execz .LBB0_1297
; %bb.1296:
	global_wb scope:SCOPE_DEV
	s_wait_storecnt 0x0
	s_wait_loadcnt_dscnt 0x0
	global_inv scope:SCOPE_DEV
	s_barrier_signal -1
	s_barrier_wait -1
.LBB0_1297:
	s_or_b32 exec_lo, exec_lo, s0
	s_clause 0x19
	scratch_load_b32 v89, off, s32
	scratch_load_b32 v88, off, s32 offset:4
	scratch_load_b32 v79, off, s32 offset:8
	;; [unrolled: 1-line block ×25, first 2 shown]
	s_wait_loadcnt_dscnt 0x0
	s_set_pc_i64 s[30:31]
.Lfunc_end0:
	.size	_ZN12_GLOBAL__N_17runRingI14__hip_fp8_e4m313FuncPreMulSumIS1_E7ProtoLLLi0ELi1ELi0EEEviiP15ncclDevWorkColl, .Lfunc_end0-_ZN12_GLOBAL__N_17runRingI14__hip_fp8_e4m313FuncPreMulSumIS1_E7ProtoLLLi0ELi1ELi0EEEviiP15ncclDevWorkColl
                                        ; -- End function
	.set .L_ZN12_GLOBAL__N_17runRingI14__hip_fp8_e4m313FuncPreMulSumIS1_E7ProtoLLLi0ELi1ELi0EEEviiP15ncclDevWorkColl.num_vgpr, 120
	.set .L_ZN12_GLOBAL__N_17runRingI14__hip_fp8_e4m313FuncPreMulSumIS1_E7ProtoLLLi0ELi1ELi0EEEviiP15ncclDevWorkColl.num_agpr, 0
	.set .L_ZN12_GLOBAL__N_17runRingI14__hip_fp8_e4m313FuncPreMulSumIS1_E7ProtoLLLi0ELi1ELi0EEEviiP15ncclDevWorkColl.numbered_sgpr, 33
	.set .L_ZN12_GLOBAL__N_17runRingI14__hip_fp8_e4m313FuncPreMulSumIS1_E7ProtoLLLi0ELi1ELi0EEEviiP15ncclDevWorkColl.num_named_barrier, 0
	.set .L_ZN12_GLOBAL__N_17runRingI14__hip_fp8_e4m313FuncPreMulSumIS1_E7ProtoLLLi0ELi1ELi0EEEviiP15ncclDevWorkColl.private_seg_size, 108
	.set .L_ZN12_GLOBAL__N_17runRingI14__hip_fp8_e4m313FuncPreMulSumIS1_E7ProtoLLLi0ELi1ELi0EEEviiP15ncclDevWorkColl.uses_vcc, 1
	.set .L_ZN12_GLOBAL__N_17runRingI14__hip_fp8_e4m313FuncPreMulSumIS1_E7ProtoLLLi0ELi1ELi0EEEviiP15ncclDevWorkColl.uses_flat_scratch, 1
	.set .L_ZN12_GLOBAL__N_17runRingI14__hip_fp8_e4m313FuncPreMulSumIS1_E7ProtoLLLi0ELi1ELi0EEEviiP15ncclDevWorkColl.has_dyn_sized_stack, 0
	.set .L_ZN12_GLOBAL__N_17runRingI14__hip_fp8_e4m313FuncPreMulSumIS1_E7ProtoLLLi0ELi1ELi0EEEviiP15ncclDevWorkColl.has_recursion, 0
	.set .L_ZN12_GLOBAL__N_17runRingI14__hip_fp8_e4m313FuncPreMulSumIS1_E7ProtoLLLi0ELi1ELi0EEEviiP15ncclDevWorkColl.has_indirect_call, 0
	.section	.AMDGPU.csdata,"",@progbits
; Function info:
; codeLenInByte = 43372
; TotalNumSgprs: 35
; NumVgprs: 120
; ScratchSize: 108
; MemoryBound: 0
	.text
	.p2align	2                               ; -- Begin function _Z56ncclDevFunc_ReduceScatter_RING_LL_PreMulSum_f8e4m3_0_0_1v
	.type	_Z56ncclDevFunc_ReduceScatter_RING_LL_PreMulSum_f8e4m3_0_0_1v,@function
_Z56ncclDevFunc_ReduceScatter_RING_LL_PreMulSum_f8e4m3_0_0_1v: ; @_Z56ncclDevFunc_ReduceScatter_RING_LL_PreMulSum_f8e4m3_0_0_1v
; %bb.0:
	s_wait_loadcnt_dscnt 0x0
	s_wait_kmcnt 0x0
	s_mov_b32 s46, s33
	s_mov_b32 s33, s32
	s_or_saveexec_b32 s0, -1
	scratch_store_b32 off, v41, s33 offset:4 ; 4-byte Folded Spill
	s_wait_xcnt 0x0
	s_mov_b32 exec_lo, s0
	s_add_co_i32 s32, s32, 16
	scratch_store_b32 off, v40, s33         ; 4-byte Folded Spill
	v_writelane_b32 v41, s30, 0
	v_writelane_b32 v41, s31, 1
	s_trap 2
	ds_load_b32 v0, v0
	s_wait_xcnt 0x0
	v_and_b32_e32 v40, 0x3ff, v31
	s_mov_b32 s29, s12
	s_mov_b64 s[40:41], s[8:9]
	s_mov_b32 s2, exec_lo
	s_wait_dscnt 0x0
	v_cmpx_lt_i32_e64 v40, v0
	s_cbranch_execz .LBB1_5
; %bb.1:
	s_load_b32 s0, s[40:41], 0x0
	s_bfe_u32 s1, ttmp6, 0x4000c
	s_and_b32 s3, ttmp6, 15
	s_add_co_i32 s1, s1, 1
	s_getreg_b32 s4, hwreg(HW_REG_IB_STS2, 6, 4)
	s_mul_i32 s1, ttmp9, s1
	v_mov_b32_e32 v2, v40
	s_add_co_i32 s3, s3, s1
	s_cmp_eq_u32 s4, 0
                                        ; implicit-def: $vgpr3
	s_cselect_b32 s1, ttmp9, s3
	s_mov_b32 s3, 0
	s_wait_kmcnt 0x0
	s_cmp_lt_u32 s1, s0
	s_mov_b32 s1, 0
	s_cselect_b32 s0, 12, 18
	s_delay_alu instid0(SALU_CYCLE_1)
	s_add_nc_u64 s[4:5], s[40:41], s[0:1]
	s_load_u16 s0, s[4:5], 0x0
	s_trap 2
	ds_load_b32 v1, v0
	s_wait_dscnt 0x0
	s_wait_kmcnt 0x0
	v_mul_lo_u32 v1, v1, s0
	s_branch .LBB1_3
.LBB1_2:                                ;   in Loop: Header=BB1_3 Depth=1
	s_or_b32 exec_lo, exec_lo, s4
	v_dual_add_nc_u32 v2, s0, v2 :: v_dual_add_nc_u32 v3, v3, v1
	s_delay_alu instid0(VALU_DEP_1) | instskip(SKIP_1) | instid1(SALU_CYCLE_1)
	v_cmp_ge_i32_e32 vcc_lo, v2, v0
	s_or_b32 s3, vcc_lo, s3
	s_and_not1_b32 exec_lo, exec_lo, s3
	s_cbranch_execz .LBB1_5
.LBB1_3:                                ; =>This Inner Loop Header: Depth=1
	ds_load_b32 v4, v3
	s_mov_b32 s4, exec_lo
	s_wait_dscnt 0x0
	v_and_b32_e32 v4, 0x1000000, v4
	s_delay_alu instid0(VALU_DEP_1)
	v_cmpx_ne_u32_e32 0, v4
	s_cbranch_execz .LBB1_2
; %bb.4:                                ;   in Loop: Header=BB1_3 Depth=1
	ds_load_b64 v[4:5], v3 offset:104
	s_wait_dscnt 0x0
	flat_load_u8 v4, v[4:5]
	s_wait_xcnt 0x0
	v_mov_b32_e32 v5, s1
	s_wait_loadcnt_dscnt 0x0
	v_and_b32_e32 v4, 0xffff, v4
	ds_store_b64 v3, v[4:5] offset:104
	s_branch .LBB1_2
.LBB1_5:
	s_or_b32 exec_lo, exec_lo, s2
	s_wait_storecnt_dscnt 0x0
	s_barrier_signal -1
	s_barrier_wait -1
	s_trap 2
	ds_load_b32 v0, v0
	s_wait_dscnt 0x0
	v_cmp_gt_i32_e32 vcc_lo, 1, v0
	s_cbranch_vccnz .LBB1_13
; %bb.6:
	s_mov_b32 s44, 0
	s_get_pc_i64 s[42:43]
	s_add_nc_u64 s[42:43], s[42:43], _ZN12_GLOBAL__N_17runRingI14__hip_fp8_e4m313FuncPreMulSumIS1_E7ProtoLLLi0ELi1ELi0EEEviiP15ncclDevWorkColl@rel64+4
	s_branch .LBB1_8
.LBB1_7:                                ;   in Loop: Header=BB1_8 Depth=1
	s_or_b32 exec_lo, exec_lo, s45
	s_trap 2
	ds_load_b32 v0, v0
	s_add_co_i32 s44, s44, 1
	s_wait_dscnt 0x0
	v_cmp_lt_i32_e32 vcc_lo, s44, v0
	s_cbranch_vccz .LBB1_13
.LBB1_8:                                ; =>This Inner Loop Header: Depth=1
	s_trap 2
	ds_load_b32 v0, v0
	s_cmp_eq_u32 s44, 0
	s_cbranch_scc1 .LBB1_11
; %bb.9:                                ;   in Loop: Header=BB1_8 Depth=1
	s_trap 2
	s_wait_dscnt 0x0
	ds_load_b32 v1, v0
	s_wait_dscnt 0x0
	v_xor_b32_e32 v1, v1, v0
	s_delay_alu instid0(VALU_DEP_1) | instskip(NEXT) | instid1(VALU_DEP_1)
	v_and_b32_e32 v1, 0xff0000, v1
	v_cmp_eq_u32_e32 vcc_lo, 0, v1
	s_cbranch_vccnz .LBB1_11
; %bb.10:                               ;   in Loop: Header=BB1_8 Depth=1
	s_barrier_signal -1
	s_barrier_wait -1
	ds_load_b32 v0, v0
.LBB1_11:                               ;   in Loop: Header=BB1_8 Depth=1
	s_wait_dscnt 0x0
	v_lshrrev_b32_e32 v0, 11, v0
	s_mov_b32 s45, exec_lo
	s_delay_alu instid0(VALU_DEP_1) | instskip(NEXT) | instid1(VALU_DEP_1)
	v_and_b32_e32 v1, 0x1fe0, v0
	v_cmpx_lt_u32_e64 v40, v1
	s_cbranch_execz .LBB1_7
; %bb.12:                               ;   in Loop: Header=BB1_8 Depth=1
	s_mov_b64 s[0:1], src_shared_base
	s_delay_alu instid0(SALU_CYCLE_1)
	v_dual_mov_b32 v0, v40 :: v_dual_mov_b32 v3, s1
	s_mov_b64 s[8:9], s[40:41]
	s_mov_b32 s12, s29
	s_swap_pc_i64 s[30:31], s[42:43]
	s_branch .LBB1_7
.LBB1_13:
	scratch_load_b32 v40, off, s33          ; 4-byte Folded Reload
	v_readlane_b32 s30, v41, 0
	v_readlane_b32 s31, v41, 1
	s_mov_b32 s32, s33
	s_wait_xcnt 0x0
	s_or_saveexec_b32 s0, -1
	scratch_load_b32 v41, off, s33 offset:4 ; 4-byte Folded Reload
	s_wait_xcnt 0x0
	s_mov_b32 exec_lo, s0
	s_mov_b32 s33, s46
	s_wait_loadcnt 0x0
	s_set_pc_i64 s[30:31]
.Lfunc_end1:
	.size	_Z56ncclDevFunc_ReduceScatter_RING_LL_PreMulSum_f8e4m3_0_0_1v, .Lfunc_end1-_Z56ncclDevFunc_ReduceScatter_RING_LL_PreMulSum_f8e4m3_0_0_1v
                                        ; -- End function
	.set .L_Z56ncclDevFunc_ReduceScatter_RING_LL_PreMulSum_f8e4m3_0_0_1v.num_vgpr, max(42, .L_ZN12_GLOBAL__N_17runRingI14__hip_fp8_e4m313FuncPreMulSumIS1_E7ProtoLLLi0ELi1ELi0EEEviiP15ncclDevWorkColl.num_vgpr)
	.set .L_Z56ncclDevFunc_ReduceScatter_RING_LL_PreMulSum_f8e4m3_0_0_1v.num_agpr, max(0, .L_ZN12_GLOBAL__N_17runRingI14__hip_fp8_e4m313FuncPreMulSumIS1_E7ProtoLLLi0ELi1ELi0EEEviiP15ncclDevWorkColl.num_agpr)
	.set .L_Z56ncclDevFunc_ReduceScatter_RING_LL_PreMulSum_f8e4m3_0_0_1v.numbered_sgpr, max(47, .L_ZN12_GLOBAL__N_17runRingI14__hip_fp8_e4m313FuncPreMulSumIS1_E7ProtoLLLi0ELi1ELi0EEEviiP15ncclDevWorkColl.numbered_sgpr)
	.set .L_Z56ncclDevFunc_ReduceScatter_RING_LL_PreMulSum_f8e4m3_0_0_1v.num_named_barrier, max(0, .L_ZN12_GLOBAL__N_17runRingI14__hip_fp8_e4m313FuncPreMulSumIS1_E7ProtoLLLi0ELi1ELi0EEEviiP15ncclDevWorkColl.num_named_barrier)
	.set .L_Z56ncclDevFunc_ReduceScatter_RING_LL_PreMulSum_f8e4m3_0_0_1v.private_seg_size, 16+max(.L_ZN12_GLOBAL__N_17runRingI14__hip_fp8_e4m313FuncPreMulSumIS1_E7ProtoLLLi0ELi1ELi0EEEviiP15ncclDevWorkColl.private_seg_size)
	.set .L_Z56ncclDevFunc_ReduceScatter_RING_LL_PreMulSum_f8e4m3_0_0_1v.uses_vcc, or(1, .L_ZN12_GLOBAL__N_17runRingI14__hip_fp8_e4m313FuncPreMulSumIS1_E7ProtoLLLi0ELi1ELi0EEEviiP15ncclDevWorkColl.uses_vcc)
	.set .L_Z56ncclDevFunc_ReduceScatter_RING_LL_PreMulSum_f8e4m3_0_0_1v.uses_flat_scratch, or(0, .L_ZN12_GLOBAL__N_17runRingI14__hip_fp8_e4m313FuncPreMulSumIS1_E7ProtoLLLi0ELi1ELi0EEEviiP15ncclDevWorkColl.uses_flat_scratch)
	.set .L_Z56ncclDevFunc_ReduceScatter_RING_LL_PreMulSum_f8e4m3_0_0_1v.has_dyn_sized_stack, or(0, .L_ZN12_GLOBAL__N_17runRingI14__hip_fp8_e4m313FuncPreMulSumIS1_E7ProtoLLLi0ELi1ELi0EEEviiP15ncclDevWorkColl.has_dyn_sized_stack)
	.set .L_Z56ncclDevFunc_ReduceScatter_RING_LL_PreMulSum_f8e4m3_0_0_1v.has_recursion, or(1, .L_ZN12_GLOBAL__N_17runRingI14__hip_fp8_e4m313FuncPreMulSumIS1_E7ProtoLLLi0ELi1ELi0EEEviiP15ncclDevWorkColl.has_recursion)
	.set .L_Z56ncclDevFunc_ReduceScatter_RING_LL_PreMulSum_f8e4m3_0_0_1v.has_indirect_call, or(0, .L_ZN12_GLOBAL__N_17runRingI14__hip_fp8_e4m313FuncPreMulSumIS1_E7ProtoLLLi0ELi1ELi0EEEviiP15ncclDevWorkColl.has_indirect_call)
	.section	.AMDGPU.csdata,"",@progbits
; Function info:
; codeLenInByte = 684
; TotalNumSgprs: 49
; NumVgprs: 120
; ScratchSize: 124
; MemoryBound: 0
	.text
	.p2align	2                               ; -- Begin function _ZN12_GLOBAL__N_17runRingI14__hip_fp8_e4m313FuncPreMulSumIS1_E7ProtoLLLi0ELi2ELi0EEEviiP15ncclDevWorkColl
	.type	_ZN12_GLOBAL__N_17runRingI14__hip_fp8_e4m313FuncPreMulSumIS1_E7ProtoLLLi0ELi2ELi0EEEviiP15ncclDevWorkColl,@function
_ZN12_GLOBAL__N_17runRingI14__hip_fp8_e4m313FuncPreMulSumIS1_E7ProtoLLLi0ELi2ELi0EEEviiP15ncclDevWorkColl: ; @_ZN12_GLOBAL__N_17runRingI14__hip_fp8_e4m313FuncPreMulSumIS1_E7ProtoLLLi0ELi2ELi0EEEviiP15ncclDevWorkColl
; %bb.0:
	s_wait_loadcnt_dscnt 0x0
	s_wait_kmcnt 0x0
	s_clause 0x19
	scratch_store_b32 off, v40, s32 offset:100
	; meta instruction
	scratch_store_b32 off, v41, s32 offset:96
	; meta instruction
	;; [unrolled: 2-line block ×25, first 2 shown]
	scratch_store_b32 off, v89, s32
	s_trap 2
	s_clause 0x2
	flat_load_b32 v12, v[2:3]
	flat_load_b128 v[4:7], v[2:3] offset:72
	flat_load_b64 v[66:67], v[2:3] offset:88
	v_mov_b32_e32 v20, v1
	ds_load_b32 v8, v0
	ds_load_b64 v[22:23], v0
	s_mov_b32 s0, exec_lo
                                        ; implicit-def: $vgpr64_vgpr65
                                        ; implicit-def: $vgpr24_vgpr25
	s_wait_dscnt 0x1
	v_readfirstlane_b32 s10, v8
	s_wait_loadcnt 0x2
	v_bfe_u32 v9, v12, 8, 8
	v_bitop3_b32 v1, v12, 0xff, v12 bitop3:0x3f
	s_delay_alu instid0(VALU_DEP_1) | instskip(NEXT) | instid1(VALU_DEP_1)
	v_add_nc_u32_e32 v10, v9, v1
	v_ashrrev_i32_e32 v11, 31, v10
	s_wait_loadcnt 0x1
	s_delay_alu instid0(VALU_DEP_1) | instskip(SKIP_2) | instid1(VALU_DEP_1)
	v_mul_u64_e32 v[18:19], v[6:7], v[10:11]
	v_and_b32_e32 v10, 0xff, v12
	s_wait_xcnt 0x0
	v_cmpx_ne_u32_e64 v8, v10
	s_xor_b32 s0, exec_lo, s0
	s_cbranch_execz .LBB2_6
; %bb.1:
	s_mov_b32 s1, exec_lo
                                        ; implicit-def: $vgpr64_vgpr65
                                        ; implicit-def: $vgpr24_vgpr25
	v_cmpx_ne_u32_e64 v8, v9
	s_xor_b32 s1, exec_lo, s1
	s_cbranch_execz .LBB2_3
; %bb.2:
	flat_load_b64 v[10:11], v[2:3] offset:96
	v_add_nc_u32_e32 v1, v8, v1
	s_delay_alu instid0(VALU_DEP_1) | instskip(NEXT) | instid1(VALU_DEP_1)
	v_mad_nc_u64_u32 v[24:25], v6, v1, v[4:5]
	v_mad_u32 v8, v7, v1, v25
	v_ashrrev_i32_e32 v1, 31, v1
	s_delay_alu instid0(VALU_DEP_1)
	v_mad_u32 v25, v6, v1, v8
	s_wait_loadcnt_dscnt 0x0
	v_lshrrev_b64 v[64:65], 17, v[10:11]
.LBB2_3:
	s_wait_xcnt 0x0
	s_and_not1_saveexec_b32 s1, s1
	s_cbranch_execz .LBB2_5
; %bb.4:
	flat_load_b32 v1, v[2:3] offset:100
	v_add_nc_u64_e32 v[24:25], v[18:19], v[4:5]
	s_wait_loadcnt 0x1
	v_mov_b64_e32 v[6:7], v[66:67]
	s_wait_loadcnt_dscnt 0x0
	v_lshrrev_b32_e32 v64, 6, v1
.LBB2_5:
	s_wait_xcnt 0x0
	s_or_b32 exec_lo, exec_lo, s1
.LBB2_6:
	s_and_not1_saveexec_b32 s0, s0
	s_cbranch_execz .LBB2_8
; %bb.7:
	flat_load_b64 v[6:7], v[2:3] offset:96
	v_mov_b64_e32 v[24:25], 0
	s_wait_loadcnt_dscnt 0x0
	v_lshlrev_b64_e32 v[64:65], 4, v[6:7]
	v_mov_b64_e32 v[6:7], v[4:5]
.LBB2_8:
	s_wait_xcnt 0x0
	s_or_b32 exec_lo, exec_lo, s0
	s_clause 0x3
	flat_load_b64 v[14:15], v[2:3] offset:104
	flat_load_b128 v[8:11], v[2:3] offset:16
	flat_load_u16 v13, v[2:3] offset:8
	flat_load_b32 v12, v[2:3] offset:4
	v_dual_mov_b32 v1, 0 :: v_dual_mov_b32 v30, 0
	s_mov_b32 s1, 0
	s_mov_b32 s0, exec_lo
	s_wait_loadcnt_dscnt 0x303
	s_wait_xcnt 0x0
	v_and_b32_e32 v2, 0xff, v14
	s_delay_alu instid0(VALU_DEP_1)
	v_cmpx_ne_u16_e32 0, v2
	s_cbranch_execz .LBB2_14
; %bb.9:
	v_bfrev_b32_e32 v30, 1
	s_mov_b32 s2, exec_lo
	v_cmpx_ne_u16_e32 0x80, v2
	s_cbranch_execz .LBB2_13
; %bb.10:
	v_and_b32_e32 v2, 0x7f, v14
	v_mov_b32_e32 v30, 0x7f800001
	s_mov_b32 s3, exec_lo
	s_delay_alu instid0(VALU_DEP_2)
	v_cmpx_ne_u32_e32 0x7f, v2
	s_cbranch_execz .LBB2_12
; %bb.11:
	v_cmp_gt_u32_e32 vcc_lo, 8, v2
	v_and_b32_e32 v3, 7, v14
	s_delay_alu instid0(VALU_DEP_1) | instskip(NEXT) | instid1(VALU_DEP_1)
	v_clz_i32_u32_e32 v3, v3
	v_min_u32_e32 v3, 32, v3
	v_lshrrev_b32_e32 v16, 3, v2
	s_delay_alu instid0(VALU_DEP_2) | instskip(NEXT) | instid1(VALU_DEP_1)
	v_subrev_nc_u32_e32 v17, 28, v3
	v_dual_cndmask_b32 v2, 0, v17 :: v_dual_sub_nc_u32 v3, 29, v3
	s_delay_alu instid0(VALU_DEP_1) | instskip(NEXT) | instid1(VALU_DEP_2)
	v_cndmask_b32_e32 v16, v16, v3, vcc_lo
	v_lshlrev_b64_e32 v[2:3], v2, v[14:15]
	v_lshlrev_b32_e32 v3, 24, v14
	s_delay_alu instid0(VALU_DEP_3) | instskip(NEXT) | instid1(VALU_DEP_2)
	v_lshl_add_u32 v14, v16, 23, 0x3c000000
	v_and_b32_e32 v3, 0x80000000, v3
	s_delay_alu instid0(VALU_DEP_4) | instskip(NEXT) | instid1(VALU_DEP_1)
	v_lshlrev_b32_e32 v2, 20, v2
	v_and_b32_e32 v2, 0x700000, v2
	s_delay_alu instid0(VALU_DEP_1)
	v_or3_b32 v30, v2, v3, v14
.LBB2_12:
	s_or_b32 exec_lo, exec_lo, s3
.LBB2_13:
	s_delay_alu instid0(SALU_CYCLE_1)
	s_or_b32 exec_lo, exec_lo, s2
.LBB2_14:
	s_delay_alu instid0(SALU_CYCLE_1)
	s_or_b32 exec_lo, exec_lo, s0
	s_load_b32 s0, s[8:9], 0x0
	s_bfe_u32 s2, ttmp6, 0x4000c
	s_and_b32 s3, ttmp6, 15
	s_add_co_i32 s2, s2, 1
	s_getreg_b32 s4, hwreg(HW_REG_IB_STS2, 6, 4)
	s_mul_i32 s2, ttmp9, s2
	s_wait_loadcnt_dscnt 0x0
	v_lshrrev_b64 v[14:15], 31, v[12:13]
	s_add_co_i32 s3, s3, s2
	s_cmp_eq_u32 s4, 0
	v_and_b32_e32 v12, 31, v0
	s_cselect_b32 s2, ttmp9, s3
	v_mov_b64_e32 v[26:27], 0
	s_delay_alu instid0(VALU_DEP_3) | instskip(NEXT) | instid1(VALU_DEP_1)
	v_and_b32_e32 v3, 3, v14
	v_and_b32_e32 v13, 0xffff, v3
	s_wait_kmcnt 0x0
	s_cmp_lt_u32 s2, s0
	s_cselect_b32 s0, 12, 18
	s_delay_alu instid0(SALU_CYCLE_1)
	s_add_nc_u64 s[2:3], s[8:9], s[0:1]
	v_cmp_eq_u32_e64 s0, 0, v12
	global_load_u16 v1, v1, s[2:3]
	s_trap 2
	ds_load_b32 v2, v0
	s_wait_dscnt 0x0
	v_cmp_gt_i32_e32 vcc_lo, 0, v2
	s_wait_xcnt 0x0
	v_readfirstlane_b32 s2, v2
	s_cbranch_vccnz .LBB2_16
; %bb.15:
	s_trap 2
	ds_load_b64 v[14:15], v0
	s_mov_b32 s1, 1
	s_wait_dscnt 0x0
	v_readfirstlane_b32 s4, v14
	v_readfirstlane_b32 s5, v15
	flat_load_b64 v[2:3], v2, s[4:5] scale_offset
	s_wait_loadcnt_dscnt 0x0
	v_mad_nc_u64_u32 v[2:3], 0xa8, v13, v[2:3]
	s_clause 0x1
	flat_load_b64 v[32:33], v[2:3] offset:504
	flat_load_b64 v[34:35], v[2:3] offset:608
	v_add_nc_u64_e32 v[28:29], 0x1f8, v[2:3]
	s_wait_xcnt 0x0
	s_delay_alu instid0(VALU_DEP_1)
	v_dual_cndmask_b32 v3, 0, v29, s0 :: v_dual_cndmask_b32 v2, 0, v28, s0
	s_branch .LBB2_17
.LBB2_16:
	v_mov_b64_e32 v[28:29], 0
	v_mov_b64_e32 v[2:3], 0
                                        ; implicit-def: $vgpr34_vgpr35
                                        ; implicit-def: $vgpr32_vgpr33
.LBB2_17:
	s_trap 2
	ds_load_b32 v14, v0
	s_wait_dscnt 0x0
	v_cmp_gt_i32_e32 vcc_lo, 0, v14
	s_cbranch_vccnz .LBB2_19
; %bb.18:
	s_trap 2
	ds_load_b64 v[16:17], v0
	v_cmp_eq_u32_e32 vcc_lo, 0, v12
	s_wait_dscnt 0x0
	v_readfirstlane_b32 s4, v16
	v_readfirstlane_b32 s5, v17
	flat_load_b64 v[14:15], v14, s[4:5] scale_offset
	s_wait_loadcnt_dscnt 0x0
	v_mad_nc_u64_u32 v[26:27], 0xa8, v13, v[14:15]
	s_clause 0x1
	flat_load_b64 v[36:37], v[26:27]
	flat_load_b64 v[16:17], v[26:27] offset:104
	v_dual_cndmask_b32 v53, 0, v27 :: v_dual_cndmask_b32 v52, 0, v26
	s_branch .LBB2_20
.LBB2_19:
	v_mov_b64_e32 v[52:53], 0
                                        ; implicit-def: $vgpr16_vgpr17
                                        ; implicit-def: $vgpr36_vgpr37
.LBB2_20:
	s_wait_xcnt 0x2
	v_subrev_nc_u32_e32 v14, 32, v20
	v_cmp_gt_u32_e32 vcc_lo, s1, v12
	v_mov_b64_e32 v[12:13], 0
	v_mov_b64_e32 v[48:49], 0
                                        ; implicit-def: $vgpr38_vgpr39
	s_delay_alu instid0(VALU_DEP_4)
	v_cmp_ge_i32_e64 s0, v0, v14
	s_and_b32 s9, s0, vcc_lo
	s_wait_xcnt 0x0
	s_and_saveexec_b32 s0, s9
	s_cbranch_execz .LBB2_22
; %bb.21:
	s_clause 0x1
	flat_load_b64 v[48:49], v[2:3] offset:56
	flat_load_b64 v[38:39], v[2:3] offset:104
.LBB2_22:
	s_wait_xcnt 0x0
	s_or_b32 exec_lo, exec_lo, s0
	v_mov_b64_e32 v[50:51], 0
	v_cmp_gt_u32_e64 s0, s1, v0
                                        ; implicit-def: $vgpr54_vgpr55
	s_and_saveexec_b32 s1, s0
	s_cbranch_execz .LBB2_24
; %bb.23:
	flat_load_b64 v[50:51], v[52:53] offset:56
	s_wait_loadcnt_dscnt 0x0
	flat_load_b64 v[54:55], v[50:51] scope:SCOPE_SYS
	s_wait_loadcnt 0x0
	flat_load_b128 v[12:15], v[52:53] offset:96
.LBB2_24:
	s_wait_xcnt 0x0
	s_or_b32 exec_lo, exec_lo, s1
	v_mov_b64_e32 v[52:53], 0
	s_wait_loadcnt 0x0
	v_and_b32_e32 v56, 0xffff, v1
	s_mov_b32 s12, exec_lo
	v_cmpx_ne_u64_e32 0, v[6:7]
	s_cbranch_execnz .LBB2_40
; %bb.25:
	s_or_b32 exec_lo, exec_lo, s12
	s_and_saveexec_b32 s1, s9
	s_cbranch_execnz .LBB2_1290
.LBB2_26:
	s_or_b32 exec_lo, exec_lo, s1
	s_and_saveexec_b32 s1, s0
	s_cbranch_execz .LBB2_28
.LBB2_27:
	s_wait_dscnt 0x0
	flat_store_b64 v[26:27], v[14:15] offset:104
.LBB2_28:
	s_wait_xcnt 0x0
	s_or_b32 exec_lo, exec_lo, s1
	s_delay_alu instid0(SALU_CYCLE_1)
	s_mov_b32 s0, exec_lo
	v_cmpx_ne_u32_e32 32, v20
	s_cbranch_execz .LBB2_1297
; %bb.29:
	s_mov_b32 s1, exec_lo
	v_cmpx_ne_u32_e64 v20, v56
	s_xor_b32 s1, exec_lo, s1
	s_cbranch_execz .LBB2_1295
; %bb.30:
	v_and_b32_e32 v0, 31, v31
	s_mov_b32 s2, exec_lo
	s_delay_alu instid0(VALU_DEP_1)
	v_cmpx_eq_u32_e32 0, v0
	s_cbranch_execz .LBB2_1294
; %bb.31:
	s_mov_b32 s4, exec_lo
	s_mov_b32 s3, exec_lo
	v_mbcnt_lo_u32_b32 v0, s4, 0
	global_wb scope:SCOPE_DEV
	s_wait_storecnt 0x0
	s_wait_loadcnt_dscnt 0x0
	global_inv scope:SCOPE_DEV
	v_cmpx_eq_u32_e32 0, v0
	s_cbranch_execz .LBB2_33
; %bb.32:
	s_bcnt1_i32_b32 s4, s4
	s_delay_alu instid0(SALU_CYCLE_1)
	v_dual_mov_b32 v1, 0 :: v_dual_mov_b32 v0, s4
	s_wait_loadcnt 0x0
	ds_add_u64 v0, v[0:1]
	s_trap 2
.LBB2_33:
	s_or_b32 exec_lo, exec_lo, s3
	s_trap 2
	ds_load_b64 v[2:3], v0
	s_wait_dscnt 0x0
	v_dual_mov_b32 v1, 0 :: v_dual_lshrrev_b32 v0, 5, v20
	s_mov_b32 s3, exec_lo
	s_delay_alu instid0(VALU_DEP_1) | instskip(NEXT) | instid1(VALU_DEP_1)
	v_add_nc_u64_e32 v[0:1], v[52:53], v[0:1]
	v_cmpx_lt_u64_e64 v[2:3], v[0:1]
	s_cbranch_execz .LBB2_1293
; %bb.34:
	s_mov_b32 s4, 0
	s_mov_b32 s7, 0
                                        ; implicit-def: $sgpr5
                                        ; implicit-def: $sgpr6
	s_branch .LBB2_36
.LBB2_35:                               ;   in Loop: Header=BB2_36 Depth=1
	s_or_b32 exec_lo, exec_lo, s9
	s_delay_alu instid0(SALU_CYCLE_1) | instskip(NEXT) | instid1(SALU_CYCLE_1)
	s_and_b32 s8, exec_lo, s10
	s_or_b32 s4, s8, s4
	s_and_not1_b32 s5, s5, exec_lo
	s_and_b32 s8, s6, exec_lo
	s_delay_alu instid0(SALU_CYCLE_1)
	s_or_b32 s5, s5, s8
	s_and_not1_b32 exec_lo, exec_lo, s4
	s_cbranch_execz .LBB2_1291
.LBB2_36:                               ; =>This Inner Loop Header: Depth=1
	s_add_co_i32 s7, s7, 1
	s_delay_alu instid0(SALU_CYCLE_1) | instskip(SKIP_1) | instid1(SALU_CYCLE_1)
	s_cmp_lg_u32 s7, 0x2710
	s_cselect_b32 s8, -1, 0
	s_and_b32 vcc_lo, exec_lo, s8
	s_cbranch_vccz .LBB2_38
; %bb.37:                               ;   in Loop: Header=BB2_36 Depth=1
	s_mov_b32 s10, -1
	s_or_b32 s6, s6, exec_lo
	s_and_saveexec_b32 s9, s8
	s_cbranch_execz .LBB2_35
	s_branch .LBB2_39
.LBB2_38:                               ;   in Loop: Header=BB2_36 Depth=1
	s_trap 2
	ds_load_b64 v[2:3], v0
	s_and_not1_b32 s8, s8, exec_lo
	s_mov_b32 s7, 0
	s_wait_loadcnt_dscnt 0x0
	flat_load_b32 v2, v[2:3] scope:SCOPE_SYS
	s_wait_loadcnt_dscnt 0x0
	global_inv scope:SCOPE_SYS
	v_cmp_eq_u32_e32 vcc_lo, 0, v2
	s_and_b32 s9, vcc_lo, exec_lo
	s_delay_alu instid0(SALU_CYCLE_1)
	s_or_b32 s8, s8, s9
	s_mov_b32 s10, -1
	s_or_b32 s6, s6, exec_lo
	s_and_saveexec_b32 s9, s8
	s_cbranch_execz .LBB2_35
.LBB2_39:                               ;   in Loop: Header=BB2_36 Depth=1
	s_sleep 1
	s_trap 2
	ds_load_b64 v[2:3], v0
	s_wait_dscnt 0x0
	s_and_not1_b32 s6, s6, exec_lo
	v_cmp_ge_u64_e32 vcc_lo, v[2:3], v[0:1]
	s_or_not1_b32 s10, vcc_lo, exec_lo
	s_branch .LBB2_35
.LBB2_40:
	v_add_nc_u64_e32 v[2:3], v[66:67], v[4:5]
	v_dual_mov_b32 v65, 0 :: v_dual_bitop2_b32 v1, 31, v31 bitop3:0x40
	s_ashr_i32 s1, s2, 31
	v_lshlrev_b32_e32 v84, 3, v0
	s_lshr_b32 s1, s1, 29
	s_delay_alu instid0(VALU_DEP_2) | instskip(NEXT) | instid1(VALU_DEP_4)
	v_mov_b32_e32 v85, v65
	v_add_nc_u64_e32 v[68:69], v[2:3], v[18:19]
	v_add_nc_u64_e32 v[2:3], v[24:25], v[10:11]
	v_dual_mov_b32 v21, v65 :: v_dual_lshlrev_b32 v57, 6, v20
	s_add_co_i32 s2, s2, s1
	s_ashr_i32 s11, s10, 31
	v_cmp_eq_u32_e64 s5, 0, v1
	v_dual_mov_b32 v87, v65 :: v_dual_mov_b32 v1, v65
	s_ashr_i32 s4, s2, 3
	s_ashr_i32 s13, s2, 7
	s_lshl_b64 s[2:3], s[10:11], 2
	v_mov_b64_e32 v[80:81], 0
	v_add_nc_u64_e32 v[70:71], s[2:3], v[22:23]
	v_cmp_ne_u64_e64 s1, 0, v[50:51]
	s_wait_dscnt 0x0
	v_cmp_ne_u64_e64 s2, 0, v[12:13]
	v_add_nc_u64_e32 v[96:97], v[10:11], v[84:85]
	v_cmp_ne_u64_e64 s6, 0, v[48:49]
	v_add_nc_u64_e32 v[8:9], v[8:9], v[84:85]
	v_add_nc_u64_e32 v[98:99], v[2:3], v[84:85]
	v_lshlrev_b64_e32 v[102:103], 4, v[20:21]
	v_mov_b64_e32 v[52:53], 0
	v_and_b32_e32 v66, 0x1fffff0, v64
	v_dual_mov_b32 v67, v65 :: v_dual_lshrrev_b32 v82, 5, v20
	s_and_b32 s11, s4, -16
	v_cmp_ne_u32_e64 s3, 32, v20
	v_cmp_ne_u32_e64 s4, v20, v56
	v_dual_mov_b32 v83, v65 :: v_dual_lshlrev_b32 v86, 3, v20
	v_lshl_add_u64 v[100:101], v[0:1], 4, v[36:37]
	v_dual_mov_b32 v1, 1 :: v_dual_mov_b32 v21, 0
	s_cmp_gt_i32 s10, 2
	s_mov_b32 s14, 0
	s_cselect_b32 s15, -1, 0
	s_branch .LBB2_42
.LBB2_41:                               ;   in Loop: Header=BB2_42 Depth=1
	s_wait_xcnt 0x0
	s_or_b32 exec_lo, exec_lo, s7
	v_add_nc_u64_e32 v[80:81], v[80:81], v[66:67]
	v_add_nc_u64_e32 v[34:35], 1, v[34:35]
	;; [unrolled: 1-line block ×3, first 2 shown]
	s_delay_alu instid0(VALU_DEP_3) | instskip(SKIP_1) | instid1(SALU_CYCLE_1)
	v_cmp_ge_u64_e32 vcc_lo, v[80:81], v[6:7]
	s_or_b32 s14, vcc_lo, s14
	s_and_not1_b32 exec_lo, exec_lo, s14
	s_cbranch_execz .LBB2_1289
.LBB2_42:                               ; =>This Loop Header: Depth=1
                                        ;     Child Loop BB2_47 Depth 2
                                        ;     Child Loop BB2_66 Depth 2
	;; [unrolled: 1-line block ×5, first 2 shown]
                                        ;       Child Loop BB2_284 Depth 3
                                        ;       Child Loop BB2_303 Depth 3
	;; [unrolled: 1-line block ×3, first 2 shown]
                                        ;         Child Loop BB2_331 Depth 4
                                        ;       Child Loop BB2_783 Depth 3
                                        ;       Child Loop BB2_320 Depth 3
                                        ;     Child Loop BB2_799 Depth 2
                                        ;       Child Loop BB2_807 Depth 3
                                        ;     Child Loop BB2_1277 Depth 2
	flat_load_b32 v114, v[70:71] offset:-4
	v_sub_nc_u64_e32 v[2:3], v[6:7], v[80:81]
	s_delay_alu instid0(VALU_DEP_1) | instskip(NEXT) | instid1(VALU_DEP_1)
	v_min_u64 v[2:3], v[66:67], v[2:3]
	v_lshl_add_u32 v3, v2, 1, 14
	s_delay_alu instid0(VALU_DEP_1)
	v_and_b32_e32 v59, 0x7fffff0, v3
	s_wait_xcnt 0x0
	s_and_saveexec_b32 s8, s1
	s_cbranch_execz .LBB2_58
; %bb.43:                               ;   in Loop: Header=BB2_42 Depth=1
	v_add_nc_u64_e32 v[4:5], 1, v[14:15]
	v_add_nc_u64_e32 v[18:19], 8, v[54:55]
	s_mov_b32 s16, exec_lo
	s_delay_alu instid0(VALU_DEP_1)
	v_cmpx_lt_u64_e64 v[18:19], v[4:5]
	s_cbranch_execz .LBB2_55
; %bb.44:                               ;   in Loop: Header=BB2_42 Depth=1
	s_mov_b32 s17, 0
	s_mov_b32 s21, 0
	v_cmp_eq_u32_e32 vcc_lo, 0, v21
                                        ; implicit-def: $sgpr18
                                        ; implicit-def: $sgpr19
                                        ; implicit-def: $sgpr20
	s_branch .LBB2_47
.LBB2_45:                               ;   in Loop: Header=BB2_47 Depth=2
	s_or_b32 exec_lo, exec_lo, s26
	s_delay_alu instid0(SALU_CYCLE_1)
	s_and_not1_b32 s7, s20, exec_lo
	s_and_b32 s20, s24, exec_lo
	s_and_not1_b32 s19, s19, exec_lo
	s_and_b32 s23, s23, exec_lo
	s_or_b32 s20, s7, s20
	s_or_b32 s19, s19, s23
.LBB2_46:                               ;   in Loop: Header=BB2_47 Depth=2
	s_or_b32 exec_lo, exec_lo, s22
	s_delay_alu instid0(SALU_CYCLE_1) | instskip(NEXT) | instid1(SALU_CYCLE_1)
	s_and_b32 s7, exec_lo, s19
	s_or_b32 s17, s7, s17
	s_and_not1_b32 s7, s18, exec_lo
	s_and_b32 s18, s20, exec_lo
	s_delay_alu instid0(SALU_CYCLE_1)
	s_or_b32 s18, s7, s18
	s_and_not1_b32 exec_lo, exec_lo, s17
	s_cbranch_execz .LBB2_52
.LBB2_47:                               ;   Parent Loop BB2_42 Depth=1
                                        ; =>  This Inner Loop Header: Depth=2
	s_sleep 1
	s_wait_loadcnt_dscnt 0x0
	flat_load_b64 v[54:55], v[50:51] scope:SCOPE_DEV
	v_mov_b32_e32 v21, 1
	s_or_b32 s20, s20, exec_lo
	s_or_b32 s19, s19, exec_lo
                                        ; implicit-def: $vgpr3
	s_wait_xcnt 0x0
	s_and_saveexec_b32 s22, vcc_lo
	s_cbranch_execz .LBB2_46
; %bb.48:                               ;   in Loop: Header=BB2_47 Depth=2
	s_add_co_i32 s21, s21, 1
	s_mov_b32 s23, -1
	s_cmp_lg_u32 s21, 0x2710
	s_mov_b32 s24, -1
	s_cselect_b32 s25, -1, 0
	s_cmp_eq_u32 s21, 0x2710
                                        ; implicit-def: $vgpr3
	s_cbranch_scc1 .LBB2_50
; %bb.49:                               ;   in Loop: Header=BB2_47 Depth=2
	v_mov_b32_e32 v21, 1
	s_and_saveexec_b32 s26, s25
	s_cbranch_execz .LBB2_45
	s_branch .LBB2_51
.LBB2_50:                               ;   in Loop: Header=BB2_47 Depth=2
	s_trap 2
	ds_load_b64 v[18:19], v0
	s_and_not1_b32 s21, s25, exec_lo
	s_mov_b32 s24, 0
	s_wait_storecnt 0x0
	s_wait_loadcnt_dscnt 0x0
	flat_load_b32 v3, v[18:19] scope:SCOPE_SYS
	s_wait_loadcnt_dscnt 0x0
	global_inv scope:SCOPE_SYS
	v_cmp_eq_u32_e64 s7, 0, v3
	s_and_b32 s7, s7, exec_lo
	s_delay_alu instid0(SALU_CYCLE_1)
	s_or_b32 s25, s21, s7
	s_mov_b32 s21, 0
	v_mov_b32_e32 v21, 1
	s_and_saveexec_b32 s26, s25
	s_cbranch_execz .LBB2_45
.LBB2_51:                               ;   in Loop: Header=BB2_47 Depth=2
	s_wait_loadcnt_dscnt 0x0
	v_add_nc_u64_e32 v[18:19], 8, v[54:55]
	v_mov_b32_e32 v21, 0
	s_or_b32 s24, s24, exec_lo
	s_delay_alu instid0(VALU_DEP_2)
	v_cmp_ge_u64_e64 s7, v[18:19], v[4:5]
	s_or_not1_b32 s23, s7, exec_lo
	s_branch .LBB2_45
.LBB2_52:                               ;   in Loop: Header=BB2_42 Depth=1
	s_or_b32 exec_lo, exec_lo, s17
	s_xor_b32 s7, s18, -1
	s_delay_alu instid0(SALU_CYCLE_1) | instskip(NEXT) | instid1(SALU_CYCLE_1)
	s_and_saveexec_b32 s17, s7
	s_xor_b32 s7, exec_lo, s17
	s_cbranch_execz .LBB2_54
; %bb.53:                               ;   in Loop: Header=BB2_42 Depth=1
	v_mov_b32_e32 v21, 1
	s_wait_storecnt 0x0
	s_wait_loadcnt_dscnt 0x0
	ds_store_b32 v0, v3
	s_trap 2
.LBB2_54:                               ;   in Loop: Header=BB2_42 Depth=1
	s_or_b32 exec_lo, exec_lo, s7
.LBB2_55:                               ;   in Loop: Header=BB2_42 Depth=1
	s_delay_alu instid0(SALU_CYCLE_1)
	s_or_b32 exec_lo, exec_lo, s16
	s_and_saveexec_b32 s7, s2
	s_cbranch_execz .LBB2_57
; %bb.56:                               ;   in Loop: Header=BB2_42 Depth=1
	v_and_b32_e32 v64, 0x7ffffff8, v14
	v_and_b32_e32 v3, 7, v14
	s_delay_alu instid0(VALU_DEP_2) | instskip(NEXT) | instid1(VALU_DEP_2)
	v_cmp_eq_u64_e32 vcc_lo, 0x7ffffff8, v[64:65]
	v_mad_nc_u64_u32 v[14:15], v3, 24, v[12:13]
	v_cndmask_b32_e64 v18, v59, s11, vcc_lo
	s_delay_alu instid0(VALU_DEP_1)
	v_ashrrev_i32_e32 v19, 31, v18
	flat_store_b64 v[14:15], v[18:19] offset:8 scope:SCOPE_SYS
	s_wait_storecnt 0x0
.LBB2_57:                               ;   in Loop: Header=BB2_42 Depth=1
	s_wait_xcnt 0x0
	s_or_b32 exec_lo, exec_lo, s7
	v_mov_b64_e32 v[14:15], v[4:5]
.LBB2_58:                               ;   in Loop: Header=BB2_42 Depth=1
	s_or_b32 exec_lo, exec_lo, s8
	s_and_saveexec_b32 s7, s3
	s_cbranch_execz .LBB2_77
; %bb.59:                               ;   in Loop: Header=BB2_42 Depth=1
	s_and_saveexec_b32 s8, s4
	s_delay_alu instid0(SALU_CYCLE_1)
	s_xor_b32 s8, exec_lo, s8
	s_cbranch_execz .LBB2_74
; %bb.60:                               ;   in Loop: Header=BB2_42 Depth=1
	s_and_saveexec_b32 s16, s5
	s_cbranch_execz .LBB2_73
; %bb.61:                               ;   in Loop: Header=BB2_42 Depth=1
	s_mov_b32 s18, exec_lo
	s_mov_b32 s17, exec_lo
	v_mbcnt_lo_u32_b32 v3, s18, 0
	global_wb scope:SCOPE_DEV
	s_wait_storecnt 0x0
	s_wait_loadcnt_dscnt 0x0
	global_inv scope:SCOPE_DEV
	v_cmpx_eq_u32_e32 0, v3
	s_cbranch_execz .LBB2_63
; %bb.62:                               ;   in Loop: Header=BB2_42 Depth=1
	s_bcnt1_i32_b32 s18, s18
	s_delay_alu instid0(SALU_CYCLE_1)
	v_mov_b32_e32 v64, s18
	s_wait_loadcnt 0x0
	ds_add_u64 v0, v[64:65]
	s_trap 2
.LBB2_63:                               ;   in Loop: Header=BB2_42 Depth=1
	s_or_b32 exec_lo, exec_lo, s17
	s_trap 2
	ds_load_b64 v[4:5], v0
	s_wait_dscnt 0x0
	v_add_nc_u64_e32 v[52:53], v[52:53], v[82:83]
	s_mov_b32 s17, exec_lo
	s_delay_alu instid0(VALU_DEP_1)
	v_cmpx_lt_u64_e64 v[4:5], v[52:53]
	s_cbranch_execz .LBB2_72
; %bb.64:                               ;   in Loop: Header=BB2_42 Depth=1
	s_mov_b32 s18, 0
	s_mov_b32 s21, 0
                                        ; implicit-def: $sgpr19
                                        ; implicit-def: $sgpr20
	s_branch .LBB2_66
.LBB2_65:                               ;   in Loop: Header=BB2_66 Depth=2
	s_or_b32 exec_lo, exec_lo, s23
	s_delay_alu instid0(SALU_CYCLE_1) | instskip(NEXT) | instid1(SALU_CYCLE_1)
	s_and_b32 s22, exec_lo, s24
	s_or_b32 s18, s22, s18
	s_and_not1_b32 s19, s19, exec_lo
	s_and_b32 s22, s20, exec_lo
	s_delay_alu instid0(SALU_CYCLE_1)
	s_or_b32 s19, s19, s22
	s_and_not1_b32 exec_lo, exec_lo, s18
	s_cbranch_execz .LBB2_70
.LBB2_66:                               ;   Parent Loop BB2_42 Depth=1
                                        ; =>  This Inner Loop Header: Depth=2
	s_add_co_i32 s21, s21, 1
	s_delay_alu instid0(SALU_CYCLE_1) | instskip(SKIP_1) | instid1(SALU_CYCLE_1)
	s_cmp_lg_u32 s21, 0x2710
	s_cselect_b32 s22, -1, 0
	s_and_b32 vcc_lo, exec_lo, s22
	s_cbranch_vccz .LBB2_68
; %bb.67:                               ;   in Loop: Header=BB2_66 Depth=2
	s_mov_b32 s24, -1
	s_or_b32 s20, s20, exec_lo
	s_and_saveexec_b32 s23, s22
	s_cbranch_execz .LBB2_65
	s_branch .LBB2_69
.LBB2_68:                               ;   in Loop: Header=BB2_66 Depth=2
	s_trap 2
	ds_load_b64 v[4:5], v0
	s_and_not1_b32 s22, s22, exec_lo
	s_mov_b32 s21, 0
	s_wait_loadcnt_dscnt 0x0
	flat_load_b32 v3, v[4:5] scope:SCOPE_SYS
	s_wait_loadcnt_dscnt 0x0
	global_inv scope:SCOPE_SYS
	v_cmp_eq_u32_e32 vcc_lo, 0, v3
	s_and_b32 s23, vcc_lo, exec_lo
	s_delay_alu instid0(SALU_CYCLE_1)
	s_or_b32 s22, s22, s23
	s_mov_b32 s24, -1
	s_or_b32 s20, s20, exec_lo
	s_and_saveexec_b32 s23, s22
	s_cbranch_execz .LBB2_65
.LBB2_69:                               ;   in Loop: Header=BB2_66 Depth=2
	s_sleep 1
	s_trap 2
	ds_load_b64 v[4:5], v0
	s_wait_dscnt 0x0
	s_and_not1_b32 s20, s20, exec_lo
	v_cmp_ge_u64_e32 vcc_lo, v[4:5], v[52:53]
	s_or_not1_b32 s24, vcc_lo, exec_lo
	s_branch .LBB2_65
.LBB2_70:                               ;   in Loop: Header=BB2_42 Depth=1
	s_or_b32 exec_lo, exec_lo, s18
	s_and_saveexec_b32 s18, s19
	s_delay_alu instid0(SALU_CYCLE_1)
	s_xor_b32 s18, exec_lo, s18
	s_cbranch_execz .LBB2_72
; %bb.71:                               ;   in Loop: Header=BB2_42 Depth=1
	ds_store_b32 v0, v1
	s_trap 2
.LBB2_72:                               ;   in Loop: Header=BB2_42 Depth=1
	s_or_b32 exec_lo, exec_lo, s17
	;;#ASMSTART
	s_wakeup
	;;#ASMEND
.LBB2_73:                               ;   in Loop: Header=BB2_42 Depth=1
	s_or_b32 exec_lo, exec_lo, s16
.LBB2_74:                               ;   in Loop: Header=BB2_42 Depth=1
	s_and_not1_saveexec_b32 s8, s8
	s_cbranch_execz .LBB2_76
; %bb.75:                               ;   in Loop: Header=BB2_42 Depth=1
	global_wb scope:SCOPE_DEV
	s_wait_storecnt 0x0
	s_wait_loadcnt_dscnt 0x0
	global_inv scope:SCOPE_DEV
	s_barrier_signal -1
	s_barrier_wait -1
.LBB2_76:                               ;   in Loop: Header=BB2_42 Depth=1
	s_or_b32 exec_lo, exec_lo, s8
.LBB2_77:                               ;   in Loop: Header=BB2_42 Depth=1
	s_delay_alu instid0(SALU_CYCLE_1) | instskip(SKIP_2) | instid1(VALU_DEP_2)
	s_or_b32 exec_lo, exec_lo, s7
	v_dual_sub_nc_u32 v58, v2, v84 :: v_dual_mov_b32 v18, v0
	v_dual_add_nc_u32 v3, 1, v16 :: v_dual_bitop2_b32 v19, 7, v16 bitop3:0x40
	v_cmp_lt_i32_e64 s7, 0, v58
	s_and_saveexec_b32 s16, s7
	s_cbranch_execz .LBB2_273
; %bb.78:                               ;   in Loop: Header=BB2_42 Depth=1
	s_wait_loadcnt_dscnt 0x0
	v_mad_nc_u64_u32 v[112:113], v68, v114, v[98:99]
	v_mul_lo_u32 v4, v19, s13
	v_mul_lo_u32 v18, v68, v114
	v_dual_mov_b32 v119, v58 :: v_dual_ashrrev_i32 v64, 31, v114
	s_mov_b32 s17, 0
	s_delay_alu instid0(VALU_DEP_4) | instskip(NEXT) | instid1(VALU_DEP_4)
	v_mad_u32 v2, v69, v114, v113
	v_ashrrev_i32_e32 v5, 31, v4
	s_delay_alu instid0(VALU_DEP_4) | instskip(SKIP_1) | instid1(VALU_DEP_3)
	v_add_lshl_u32 v118, v98, v18, 3
	v_mov_b32_e32 v18, v0
	v_lshl_add_u64 v[114:115], v[4:5], 4, v[100:101]
	v_mad_u32 v113, v68, v64, v2
	s_branch .LBB2_80
.LBB2_79:                               ;   in Loop: Header=BB2_80 Depth=2
	s_or_b32 exec_lo, exec_lo, s8
	v_dual_lshlrev_b32 v5, 8, v40 :: v_dual_lshlrev_b32 v64, 16, v41
	v_dual_lshlrev_b32 v116, 8, v44 :: v_dual_lshlrev_b32 v117, 16, v45
	;; [unrolled: 1-line block ×3, first 2 shown]
	s_delay_alu instid0(VALU_DEP_3) | instskip(SKIP_1) | instid1(VALU_DEP_4)
	v_or3_b32 v2, v5, v2, v64
	v_dual_mov_b32 v5, v3 :: v_dual_add_nc_u32 v18, v18, v20
	v_or3_b32 v64, v116, v43, v117
	v_dual_sub_nc_u32 v119, v119, v86 :: v_dual_add_nc_u32 v118, v118, v57
	s_delay_alu instid0(VALU_DEP_4) | instskip(SKIP_1) | instid1(VALU_DEP_4)
	v_or3_b32 v2, v2, v40, 0
	v_add_nc_u64_e32 v[112:113], v[112:113], v[86:87]
	v_or3_b32 v4, v64, v4, 0
	s_delay_alu instid0(VALU_DEP_4) | instskip(SKIP_4) | instid1(SALU_CYCLE_1)
	v_cmp_gt_i32_e32 vcc_lo, 1, v119
	global_store_b128 v[114:115], v[2:5], off
	s_wait_xcnt 0x0
	v_add_nc_u64_e32 v[114:115], v[114:115], v[102:103]
	s_or_b32 s17, vcc_lo, s17
	s_and_not1_b32 exec_lo, exec_lo, s17
	s_cbranch_execz .LBB2_272
.LBB2_80:                               ;   Parent Loop BB2_42 Depth=1
                                        ; =>  This Inner Loop Header: Depth=2
	s_delay_alu instid0(VALU_DEP_1)
	v_dual_mov_b32 v5, v113 :: v_dual_bitop2_b32 v4, -4, v112 bitop3:0x40
	v_min_u32_e32 v64, 8, v119
	v_dual_mov_b32 v43, 0 :: v_dual_bitop2_b32 v116, 3, v112 bitop3:0x40
	v_mov_b32_e32 v44, 0
	global_load_b32 v2, v[4:5], off th:TH_LOAD_NT
	s_mov_b32 s8, exec_lo
	v_add_nc_u32_e32 v64, v116, v64
	s_wait_xcnt 0x0
	s_delay_alu instid0(VALU_DEP_1)
	v_cmpx_lt_u32_e32 4, v64
	s_cbranch_execz .LBB2_82
; %bb.81:                               ;   in Loop: Header=BB2_80 Depth=2
	global_load_b32 v44, v[4:5], off offset:4 th:TH_LOAD_NT
.LBB2_82:                               ;   in Loop: Header=BB2_80 Depth=2
	s_wait_xcnt 0x0
	s_or_b32 exec_lo, exec_lo, s8
	s_delay_alu instid0(SALU_CYCLE_1)
	s_mov_b32 s8, exec_lo
	v_cmpx_lt_u64_e32 8, v[64:65]
	s_cbranch_execz .LBB2_84
; %bb.83:                               ;   in Loop: Header=BB2_80 Depth=2
	global_load_b32 v43, v[4:5], off offset:8 th:TH_LOAD_NT
.LBB2_84:                               ;   in Loop: Header=BB2_80 Depth=2
	s_wait_xcnt 0x0
	s_or_b32 exec_lo, exec_lo, s8
	s_wait_loadcnt 0x0
	v_alignbit_b32 v64, v44, v2, v118
	v_mov_b32_e32 v2, 0
	s_mov_b32 s8, exec_lo
	s_delay_alu instid0(VALU_DEP_2) | instskip(NEXT) | instid1(VALU_DEP_1)
	v_and_b32_e32 v4, 0xff, v64
	v_cmpx_ne_u16_e32 0, v4
	s_cbranch_execz .LBB2_90
; %bb.85:                               ;   in Loop: Header=BB2_80 Depth=2
	v_bfrev_b32_e32 v2, 1
	s_mov_b32 s18, exec_lo
	v_cmpx_ne_u16_e32 0x80, v4
	s_cbranch_execz .LBB2_89
; %bb.86:                               ;   in Loop: Header=BB2_80 Depth=2
	v_and_b32_e32 v4, 0x7f, v64
	v_mov_b32_e32 v2, 0x7f800001
	s_mov_b32 s19, exec_lo
	s_delay_alu instid0(VALU_DEP_2)
	v_cmpx_ne_u32_e32 0x7f, v4
	s_cbranch_execz .LBB2_88
; %bb.87:                               ;   in Loop: Header=BB2_80 Depth=2
	v_and_b32_e32 v2, 7, v64
	v_cmp_gt_u32_e32 vcc_lo, 8, v4
	s_delay_alu instid0(VALU_DEP_2) | instskip(NEXT) | instid1(VALU_DEP_1)
	v_clz_i32_u32_e32 v2, v2
	v_min_u32_e32 v2, 32, v2
	v_lshrrev_b32_e32 v5, 3, v4
	s_delay_alu instid0(VALU_DEP_2) | instskip(NEXT) | instid1(VALU_DEP_1)
	v_subrev_nc_u32_e32 v116, 28, v2
	v_dual_sub_nc_u32 v2, 29, v2 :: v_dual_cndmask_b32 v4, 0, v116, vcc_lo
	s_delay_alu instid0(VALU_DEP_1) | instskip(NEXT) | instid1(VALU_DEP_2)
	v_cndmask_b32_e32 v2, v5, v2, vcc_lo
	v_lshlrev_b64_e32 v[4:5], v4, v[64:65]
	v_lshlrev_b32_e32 v5, 24, v64
	s_delay_alu instid0(VALU_DEP_3) | instskip(NEXT) | instid1(VALU_DEP_2)
	v_lshl_add_u32 v2, v2, 23, 0x3c000000
	v_and_b32_e32 v5, 0x80000000, v5
	s_delay_alu instid0(VALU_DEP_4) | instskip(NEXT) | instid1(VALU_DEP_1)
	v_lshlrev_b32_e32 v4, 20, v4
	v_and_b32_e32 v4, 0x700000, v4
	s_delay_alu instid0(VALU_DEP_1)
	v_or3_b32 v2, v4, v5, v2
.LBB2_88:                               ;   in Loop: Header=BB2_80 Depth=2
	s_or_b32 exec_lo, exec_lo, s19
.LBB2_89:                               ;   in Loop: Header=BB2_80 Depth=2
	s_delay_alu instid0(SALU_CYCLE_1)
	s_or_b32 exec_lo, exec_lo, s18
.LBB2_90:                               ;   in Loop: Header=BB2_80 Depth=2
	s_delay_alu instid0(SALU_CYCLE_1) | instskip(NEXT) | instid1(VALU_DEP_1)
	s_or_b32 exec_lo, exec_lo, s8
	v_dual_mul_f32 v4, v30, v2 :: v_dual_mov_b32 v117, v65
                                        ; implicit-def: $vgpr2
	s_mov_b32 s8, exec_lo
	s_delay_alu instid0(VALU_DEP_1) | instskip(SKIP_1) | instid1(VALU_DEP_2)
	v_and_b32_e32 v116, 0x7f800000, v4
	v_lshrrev_b32_e32 v5, 24, v4
	v_cmpx_ne_u64_e32 0x7f800000, v[116:117]
	s_xor_b32 s18, exec_lo, s8
	s_cbranch_execz .LBB2_104
; %bb.91:                               ;   in Loop: Header=BB2_80 Depth=2
	v_and_b32_e32 v116, 0x7fffffff, v4
	v_mov_b32_e32 v117, v65
	v_and_b32_e32 v40, 0x80, v5
                                        ; implicit-def: $vgpr2
	s_mov_b32 s8, exec_lo
	s_delay_alu instid0(VALU_DEP_2)
	v_cmpx_gt_u64_e32 0x43e00001, v[116:117]
	s_xor_b32 s19, exec_lo, s8
	s_cbranch_execz .LBB2_101
; %bb.92:                               ;   in Loop: Header=BB2_80 Depth=2
	v_mov_b32_e32 v2, 0
	s_mov_b32 s20, exec_lo
	v_cmpx_ne_u32_e32 0, v4
	s_cbranch_execz .LBB2_100
; %bb.93:                               ;   in Loop: Header=BB2_80 Depth=2
	v_bfe_u32 v2, v4, 23, 8
	v_and_b32_e32 v116, 0x7fffff, v4
	s_mov_b32 s21, exec_lo
	s_delay_alu instid0(VALU_DEP_2) | instskip(NEXT) | instid1(VALU_DEP_2)
	v_cmp_gt_u32_e32 vcc_lo, 0x7a, v2
	v_or_b32_e32 v117, 0x800000, v116
	v_sub_nc_u32_e32 v5, 0x79, v2
	s_delay_alu instid0(VALU_DEP_1) | instskip(SKIP_1) | instid1(VALU_DEP_4)
	v_cndmask_b32_e32 v5, 0, v5, vcc_lo
	v_cmp_eq_u32_e32 vcc_lo, 0, v2
	v_cndmask_b32_e32 v116, v117, v116, vcc_lo
	v_mov_b32_e32 v117, v65
	s_delay_alu instid0(VALU_DEP_4) | instskip(NEXT) | instid1(VALU_DEP_1)
	v_cndmask_b32_e64 v41, v5, 0x78, vcc_lo
	v_dual_add_nc_u32 v4, 20, v41 :: v_dual_add_nc_u32 v42, 19, v41
	s_delay_alu instid0(VALU_DEP_1) | instskip(NEXT) | instid1(VALU_DEP_2)
	v_lshlrev_b64_e64 v[4:5], v4, -1
	v_lshlrev_b64_e64 v[46:47], v42, 1
	s_delay_alu instid0(VALU_DEP_2) | instskip(NEXT) | instid1(VALU_DEP_3)
	v_bfi_b32 v61, v5, 0, 0
	v_bfi_b32 v60, v4, 0, v116
	v_lshrrev_b64 v[4:5], v41, v[116:117]
	s_delay_alu instid0(VALU_DEP_1) | instskip(NEXT) | instid1(VALU_DEP_3)
	v_mov_b64_e32 v[116:117], v[4:5]
	v_cmpx_eq_u64_e64 v[60:61], v[46:47]
; %bb.94:                               ;   in Loop: Header=BB2_80 Depth=2
	v_bfe_u32 v116, v4, 20, 1
	v_mov_b32_e32 v117, v65
	s_delay_alu instid0(VALU_DEP_1) | instskip(NEXT) | instid1(VALU_DEP_1)
	v_add_nc_u64_e32 v[116:117], v[4:5], v[116:117]
	v_add_nc_u64_e32 v[116:117], -1, v[116:117]
; %bb.95:                               ;   in Loop: Header=BB2_80 Depth=2
	s_or_b32 exec_lo, exec_lo, s21
	v_add_nc_u32_e32 v2, 0xffffff81, v2
	v_lshrrev_b32_e32 v5, 23, v4
	s_mov_b32 s8, exec_lo
	s_delay_alu instid0(VALU_DEP_2) | instskip(NEXT) | instid1(VALU_DEP_1)
	v_cndmask_b32_e64 v2, v2, 0xffffff82, vcc_lo
	v_add3_u32 v117, v41, v2, v5
	v_and_b32_e32 v2, 0xfffff, v116
	s_delay_alu instid0(VALU_DEP_2) | instskip(NEXT) | instid1(VALU_DEP_2)
	v_dual_mov_b32 v5, v65 :: v_dual_add_nc_u32 v116, 6, v117
	v_add_nc_u32_e32 v4, v2, v4
                                        ; implicit-def: $vgpr2
	s_delay_alu instid0(VALU_DEP_2)
	v_cmpx_ne_u32_e32 0, v116
	s_xor_b32 s8, exec_lo, s8
; %bb.96:                               ;   in Loop: Header=BB2_80 Depth=2
	s_delay_alu instid0(VALU_DEP_2) | instskip(SKIP_1) | instid1(VALU_DEP_1)
	v_cmp_lt_u64_e32 vcc_lo, 0xffffff, v[4:5]
	v_add_nc_u32_e32 v2, 7, v117
	v_cndmask_b32_e32 v2, v116, v2, vcc_lo
	v_cndmask_b32_e64 v116, 0, 1, vcc_lo
	s_delay_alu instid0(VALU_DEP_1)
	v_lshrrev_b64 v[4:5], v116, v[4:5]
; %bb.97:                               ;   in Loop: Header=BB2_80 Depth=2
	s_and_not1_saveexec_b32 s8, s8
; %bb.98:                               ;   in Loop: Header=BB2_80 Depth=2
	s_delay_alu instid0(VALU_DEP_1)
	v_bfe_u32 v2, v4, 23, 1
; %bb.99:                               ;   in Loop: Header=BB2_80 Depth=2
	s_or_b32 exec_lo, exec_lo, s8
	s_delay_alu instid0(VALU_DEP_2) | instskip(NEXT) | instid1(VALU_DEP_2)
	v_lshrrev_b64 v[4:5], 20, v[4:5]
	v_cmp_gt_i32_e32 vcc_lo, 16, v2
	v_min_i32_e32 v116, 15, v2
	v_cmp_eq_u32_e64 s8, 0, v2
	s_delay_alu instid0(VALU_DEP_2) | instskip(SKIP_1) | instid1(VALU_DEP_2)
	v_dual_cndmask_b32 v5, 0, v5 :: v_dual_lshlrev_b32 v116, 3, v116
	v_cndmask_b32_e32 v4, 7, v4, vcc_lo
	v_and_b32_e32 v116, 0xf8, v116
	s_delay_alu instid0(VALU_DEP_2) | instskip(NEXT) | instid1(VALU_DEP_2)
	v_cmp_eq_u64_e32 vcc_lo, 0, v[4:5]
	v_and_or_b32 v2, v4, 7, v116
	s_and_b32 s8, s8, vcc_lo
	s_delay_alu instid0(VALU_DEP_1) | instid1(SALU_CYCLE_1)
	v_cndmask_b32_e64 v2, v2, 0, s8
	s_delay_alu instid0(VALU_DEP_1)
	v_or_b32_e32 v2, v2, v40
.LBB2_100:                              ;   in Loop: Header=BB2_80 Depth=2
	s_or_b32 exec_lo, exec_lo, s20
                                        ; implicit-def: $vgpr40
.LBB2_101:                              ;   in Loop: Header=BB2_80 Depth=2
	s_and_not1_saveexec_b32 s8, s19
; %bb.102:                              ;   in Loop: Header=BB2_80 Depth=2
	v_or_b32_e32 v2, 0x7e, v40
; %bb.103:                              ;   in Loop: Header=BB2_80 Depth=2
	s_or_b32 exec_lo, exec_lo, s8
                                        ; implicit-def: $vgpr5
.LBB2_104:                              ;   in Loop: Header=BB2_80 Depth=2
	s_and_not1_saveexec_b32 s8, s18
; %bb.105:                              ;   in Loop: Header=BB2_80 Depth=2
	v_or_b32_e32 v2, 0x7f, v5
; %bb.106:                              ;   in Loop: Header=BB2_80 Depth=2
	s_or_b32 exec_lo, exec_lo, s8
	v_lshrrev_b16 v5, 8, v64
	v_mov_b32_e32 v4, 0
	s_mov_b32 s8, exec_lo
	s_delay_alu instid0(VALU_DEP_2)
	v_cmpx_ne_u16_e32 0, v5
	s_cbranch_execz .LBB2_114
; %bb.107:                              ;   in Loop: Header=BB2_80 Depth=2
	v_bfrev_b32_e32 v4, 1
	s_mov_b32 s18, exec_lo
	v_cmpx_ne_u16_e32 0x80, v5
	s_cbranch_execz .LBB2_113
; %bb.108:                              ;   in Loop: Header=BB2_80 Depth=2
	v_and_b32_e32 v5, 0xffff, v5
	v_mov_b32_e32 v4, 0x7f800001
	s_mov_b32 s19, exec_lo
	s_delay_alu instid0(VALU_DEP_2) | instskip(NEXT) | instid1(VALU_DEP_1)
	v_and_b32_e32 v117, 0x7f, v5
	v_cmpx_ne_u32_e32 0x7f, v117
	s_cbranch_execz .LBB2_112
; %bb.109:                              ;   in Loop: Header=BB2_80 Depth=2
	v_dual_mov_b32 v5, v65 :: v_dual_bitop2_b32 v4, 7, v5 bitop3:0x40
	v_lshrrev_b32_e32 v116, 3, v117
	s_mov_b32 s20, exec_lo
	v_cmpx_gt_u32_e32 8, v117
; %bb.110:                              ;   in Loop: Header=BB2_80 Depth=2
	s_delay_alu instid0(VALU_DEP_3) | instskip(NEXT) | instid1(VALU_DEP_1)
	v_clz_i32_u32_e32 v116, v4
	v_min_u32_e32 v116, 32, v116
	s_delay_alu instid0(VALU_DEP_1) | instskip(SKIP_1) | instid1(VALU_DEP_2)
	v_subrev_nc_u32_e32 v117, 28, v116
	v_sub_nc_u32_e32 v116, 29, v116
	v_lshlrev_b64_e32 v[4:5], v117, v[4:5]
	s_delay_alu instid0(VALU_DEP_1)
	v_and_b32_e32 v4, 7, v4
; %bb.111:                              ;   in Loop: Header=BB2_80 Depth=2
	s_or_b32 exec_lo, exec_lo, s20
	v_lshlrev_b32_e32 v5, 16, v64
	s_delay_alu instid0(VALU_DEP_2) | instskip(SKIP_1) | instid1(VALU_DEP_3)
	v_lshlrev_b32_e32 v4, 20, v4
	v_lshl_add_u32 v116, v116, 23, 0x3c000000
	v_and_b32_e32 v5, 0x80000000, v5
	s_delay_alu instid0(VALU_DEP_1)
	v_or3_b32 v4, v4, v5, v116
.LBB2_112:                              ;   in Loop: Header=BB2_80 Depth=2
	s_or_b32 exec_lo, exec_lo, s19
.LBB2_113:                              ;   in Loop: Header=BB2_80 Depth=2
	s_delay_alu instid0(SALU_CYCLE_1)
	s_or_b32 exec_lo, exec_lo, s18
.LBB2_114:                              ;   in Loop: Header=BB2_80 Depth=2
	s_delay_alu instid0(SALU_CYCLE_1) | instskip(NEXT) | instid1(VALU_DEP_1)
	s_or_b32 exec_lo, exec_lo, s8
	v_dual_mul_f32 v4, v30, v4 :: v_dual_mov_b32 v117, v65
                                        ; implicit-def: $vgpr40
	s_mov_b32 s8, exec_lo
	s_delay_alu instid0(VALU_DEP_1) | instskip(SKIP_1) | instid1(VALU_DEP_2)
	v_and_b32_e32 v116, 0x7f800000, v4
	v_lshrrev_b32_e32 v5, 24, v4
	v_cmpx_ne_u64_e32 0x7f800000, v[116:117]
	s_xor_b32 s18, exec_lo, s8
	s_cbranch_execz .LBB2_128
; %bb.115:                              ;   in Loop: Header=BB2_80 Depth=2
	v_and_b32_e32 v116, 0x7fffffff, v4
	v_mov_b32_e32 v117, v65
	v_and_b32_e32 v41, 0x80, v5
                                        ; implicit-def: $vgpr40
	s_mov_b32 s8, exec_lo
	s_delay_alu instid0(VALU_DEP_2)
	v_cmpx_gt_u64_e32 0x43e00001, v[116:117]
	s_xor_b32 s19, exec_lo, s8
	s_cbranch_execz .LBB2_125
; %bb.116:                              ;   in Loop: Header=BB2_80 Depth=2
	v_mov_b32_e32 v40, 0
	s_mov_b32 s20, exec_lo
	v_cmpx_ne_u32_e32 0, v4
	s_cbranch_execz .LBB2_124
; %bb.117:                              ;   in Loop: Header=BB2_80 Depth=2
	v_bfe_u32 v40, v4, 23, 8
	v_and_b32_e32 v116, 0x7fffff, v4
	s_mov_b32 s21, exec_lo
	s_delay_alu instid0(VALU_DEP_2) | instskip(SKIP_1) | instid1(VALU_DEP_3)
	v_sub_nc_u32_e32 v5, 0x79, v40
	v_cmp_gt_u32_e32 vcc_lo, 0x7a, v40
	v_or_b32_e32 v117, 0x800000, v116
	s_delay_alu instid0(VALU_DEP_3) | instskip(SKIP_1) | instid1(VALU_DEP_2)
	v_cndmask_b32_e32 v5, 0, v5, vcc_lo
	v_cmp_eq_u32_e32 vcc_lo, 0, v40
	v_cndmask_b32_e64 v42, v5, 0x78, vcc_lo
	s_delay_alu instid0(VALU_DEP_4) | instskip(NEXT) | instid1(VALU_DEP_2)
	v_cndmask_b32_e32 v116, v117, v116, vcc_lo
	v_dual_mov_b32 v117, v65 :: v_dual_add_nc_u32 v4, 20, v42
	v_add_nc_u32_e32 v45, 19, v42
	s_delay_alu instid0(VALU_DEP_2) | instskip(NEXT) | instid1(VALU_DEP_2)
	v_lshlrev_b64_e64 v[4:5], v4, -1
	v_lshlrev_b64_e64 v[46:47], v45, 1
	s_delay_alu instid0(VALU_DEP_2) | instskip(NEXT) | instid1(VALU_DEP_3)
	v_bfi_b32 v61, v5, 0, 0
	v_bfi_b32 v60, v4, 0, v116
	v_lshrrev_b64 v[4:5], v42, v[116:117]
	s_delay_alu instid0(VALU_DEP_1) | instskip(NEXT) | instid1(VALU_DEP_3)
	v_mov_b64_e32 v[116:117], v[4:5]
	v_cmpx_eq_u64_e64 v[60:61], v[46:47]
; %bb.118:                              ;   in Loop: Header=BB2_80 Depth=2
	v_bfe_u32 v116, v4, 20, 1
	v_mov_b32_e32 v117, v65
	s_delay_alu instid0(VALU_DEP_1) | instskip(NEXT) | instid1(VALU_DEP_1)
	v_add_nc_u64_e32 v[116:117], v[4:5], v[116:117]
	v_add_nc_u64_e32 v[116:117], -1, v[116:117]
; %bb.119:                              ;   in Loop: Header=BB2_80 Depth=2
	s_or_b32 exec_lo, exec_lo, s21
	v_add_nc_u32_e32 v5, 0xffffff81, v40
	v_lshrrev_b32_e32 v117, 23, v4
	s_mov_b32 s8, exec_lo
	s_delay_alu instid0(VALU_DEP_2) | instskip(NEXT) | instid1(VALU_DEP_1)
	v_cndmask_b32_e64 v5, v5, 0xffffff82, vcc_lo
	v_add3_u32 v117, v42, v5, v117
	v_and_b32_e32 v5, 0xfffff, v116
                                        ; implicit-def: $vgpr116
	s_delay_alu instid0(VALU_DEP_1) | instskip(SKIP_1) | instid1(VALU_DEP_2)
	v_dual_add_nc_u32 v40, 6, v117 :: v_dual_add_nc_u32 v4, v5, v4
	v_mov_b32_e32 v5, v65
	v_cmpx_ne_u32_e32 0, v40
	s_xor_b32 s8, exec_lo, s8
; %bb.120:                              ;   in Loop: Header=BB2_80 Depth=2
	s_delay_alu instid0(VALU_DEP_2) | instskip(SKIP_2) | instid1(VALU_DEP_2)
	v_cmp_lt_u64_e32 vcc_lo, 0xffffff, v[4:5]
	v_add_nc_u32_e32 v116, 7, v117
	v_cndmask_b32_e64 v117, 0, 1, vcc_lo
	v_cndmask_b32_e32 v116, v40, v116, vcc_lo
	s_delay_alu instid0(VALU_DEP_2)
	v_lshrrev_b64 v[4:5], v117, v[4:5]
; %bb.121:                              ;   in Loop: Header=BB2_80 Depth=2
	s_and_not1_saveexec_b32 s8, s8
; %bb.122:                              ;   in Loop: Header=BB2_80 Depth=2
	s_delay_alu instid0(VALU_DEP_1)
	v_bfe_u32 v116, v4, 23, 1
; %bb.123:                              ;   in Loop: Header=BB2_80 Depth=2
	s_or_b32 exec_lo, exec_lo, s8
	s_delay_alu instid0(VALU_DEP_2) | instskip(NEXT) | instid1(VALU_DEP_2)
	v_lshrrev_b64 v[4:5], 20, v[4:5]
	v_cmp_gt_i32_e32 vcc_lo, 16, v116
	v_min_i32_e32 v117, 15, v116
	v_cmp_eq_u32_e64 s8, 0, v116
	s_delay_alu instid0(VALU_DEP_4) | instskip(NEXT) | instid1(VALU_DEP_3)
	v_cndmask_b32_e32 v5, 0, v5, vcc_lo
	v_dual_cndmask_b32 v4, 7, v4 :: v_dual_lshlrev_b32 v117, 3, v117
	s_delay_alu instid0(VALU_DEP_1) | instskip(NEXT) | instid1(VALU_DEP_2)
	v_and_b32_e32 v117, 0xf8, v117
	v_cmp_eq_u64_e32 vcc_lo, 0, v[4:5]
	s_delay_alu instid0(VALU_DEP_2)
	v_and_or_b32 v4, v4, 7, v117
	s_and_b32 s8, s8, vcc_lo
	s_delay_alu instid0(VALU_DEP_1) | instid1(SALU_CYCLE_1)
	v_cndmask_b32_e64 v4, v4, 0, s8
	s_delay_alu instid0(VALU_DEP_1)
	v_or_b32_e32 v40, v4, v41
.LBB2_124:                              ;   in Loop: Header=BB2_80 Depth=2
	s_or_b32 exec_lo, exec_lo, s20
                                        ; implicit-def: $vgpr41
.LBB2_125:                              ;   in Loop: Header=BB2_80 Depth=2
	s_and_not1_saveexec_b32 s8, s19
; %bb.126:                              ;   in Loop: Header=BB2_80 Depth=2
	v_or_b32_e32 v40, 0x7e, v41
; %bb.127:                              ;   in Loop: Header=BB2_80 Depth=2
	s_or_b32 exec_lo, exec_lo, s8
                                        ; implicit-def: $vgpr5
.LBB2_128:                              ;   in Loop: Header=BB2_80 Depth=2
	s_and_not1_saveexec_b32 s8, s18
; %bb.129:                              ;   in Loop: Header=BB2_80 Depth=2
	v_or_b32_e32 v40, 0x7f, v5
; %bb.130:                              ;   in Loop: Header=BB2_80 Depth=2
	s_or_b32 exec_lo, exec_lo, s8
	v_dual_lshrrev_b32 v116, 16, v64 :: v_dual_mov_b32 v4, 0
	s_mov_b32 s8, exec_lo
	s_delay_alu instid0(VALU_DEP_1) | instskip(NEXT) | instid1(VALU_DEP_1)
	v_and_b32_e32 v5, 0xff, v116
	v_cmpx_ne_u16_e32 0, v5
	s_cbranch_execz .LBB2_138
; %bb.131:                              ;   in Loop: Header=BB2_80 Depth=2
	v_bfrev_b32_e32 v4, 1
	s_mov_b32 s18, exec_lo
	v_cmpx_ne_u16_e32 0x80, v5
	s_cbranch_execz .LBB2_137
; %bb.132:                              ;   in Loop: Header=BB2_80 Depth=2
	v_bfe_u32 v41, v64, 16, 7
	v_mov_b32_e32 v4, 0x7f800001
	s_mov_b32 s19, exec_lo
	s_delay_alu instid0(VALU_DEP_2)
	v_cmpx_ne_u32_e32 0x7f, v41
	s_cbranch_execz .LBB2_136
; %bb.133:                              ;   in Loop: Header=BB2_80 Depth=2
	v_dual_mov_b32 v5, v65 :: v_dual_bitop2_b32 v4, 7, v116 bitop3:0x40
	v_lshrrev_b32_e32 v117, 3, v41
	s_mov_b32 s20, exec_lo
	v_cmpx_gt_u32_e32 8, v41
; %bb.134:                              ;   in Loop: Header=BB2_80 Depth=2
	s_delay_alu instid0(VALU_DEP_3) | instskip(NEXT) | instid1(VALU_DEP_1)
	v_clz_i32_u32_e32 v117, v4
	v_min_u32_e32 v117, 32, v117
	s_delay_alu instid0(VALU_DEP_1) | instskip(NEXT) | instid1(VALU_DEP_1)
	v_subrev_nc_u32_e32 v41, 28, v117
	v_lshlrev_b64_e32 v[4:5], v41, v[4:5]
	s_delay_alu instid0(VALU_DEP_1)
	v_dual_sub_nc_u32 v117, 29, v117 :: v_dual_bitop2_b32 v4, 7, v4 bitop3:0x40
; %bb.135:                              ;   in Loop: Header=BB2_80 Depth=2
	s_or_b32 exec_lo, exec_lo, s20
	v_lshlrev_b32_e32 v5, 24, v116
	s_delay_alu instid0(VALU_DEP_2) | instskip(NEXT) | instid1(VALU_DEP_3)
	v_lshlrev_b32_e32 v4, 20, v4
	v_lshl_add_u32 v116, v117, 23, 0x3c000000
	s_delay_alu instid0(VALU_DEP_3) | instskip(NEXT) | instid1(VALU_DEP_1)
	v_and_b32_e32 v5, 0x80000000, v5
	v_or3_b32 v4, v4, v5, v116
.LBB2_136:                              ;   in Loop: Header=BB2_80 Depth=2
	s_or_b32 exec_lo, exec_lo, s19
.LBB2_137:                              ;   in Loop: Header=BB2_80 Depth=2
	s_delay_alu instid0(SALU_CYCLE_1)
	s_or_b32 exec_lo, exec_lo, s18
.LBB2_138:                              ;   in Loop: Header=BB2_80 Depth=2
	s_delay_alu instid0(SALU_CYCLE_1) | instskip(NEXT) | instid1(VALU_DEP_1)
	s_or_b32 exec_lo, exec_lo, s8
	v_dual_mul_f32 v4, v30, v4 :: v_dual_mov_b32 v117, v65
                                        ; implicit-def: $vgpr41
	s_mov_b32 s8, exec_lo
	s_delay_alu instid0(VALU_DEP_1) | instskip(SKIP_1) | instid1(VALU_DEP_2)
	v_and_b32_e32 v116, 0x7f800000, v4
	v_lshrrev_b32_e32 v5, 24, v4
	v_cmpx_ne_u64_e32 0x7f800000, v[116:117]
	s_xor_b32 s18, exec_lo, s8
	s_cbranch_execz .LBB2_152
; %bb.139:                              ;   in Loop: Header=BB2_80 Depth=2
	v_and_b32_e32 v116, 0x7fffffff, v4
	v_mov_b32_e32 v117, v65
	v_and_b32_e32 v42, 0x80, v5
                                        ; implicit-def: $vgpr41
	s_mov_b32 s8, exec_lo
	s_delay_alu instid0(VALU_DEP_2)
	v_cmpx_gt_u64_e32 0x43e00001, v[116:117]
	s_xor_b32 s19, exec_lo, s8
	s_cbranch_execz .LBB2_149
; %bb.140:                              ;   in Loop: Header=BB2_80 Depth=2
	v_mov_b32_e32 v41, 0
	s_mov_b32 s20, exec_lo
	v_cmpx_ne_u32_e32 0, v4
	s_cbranch_execz .LBB2_148
; %bb.141:                              ;   in Loop: Header=BB2_80 Depth=2
	v_bfe_u32 v41, v4, 23, 8
	v_and_b32_e32 v116, 0x7fffff, v4
	s_mov_b32 s21, exec_lo
	s_delay_alu instid0(VALU_DEP_2) | instskip(NEXT) | instid1(VALU_DEP_2)
	v_cmp_gt_u32_e32 vcc_lo, 0x7a, v41
	v_or_b32_e32 v117, 0x800000, v116
	v_sub_nc_u32_e32 v5, 0x79, v41
	s_delay_alu instid0(VALU_DEP_1) | instskip(SKIP_1) | instid1(VALU_DEP_4)
	v_cndmask_b32_e32 v5, 0, v5, vcc_lo
	v_cmp_eq_u32_e32 vcc_lo, 0, v41
	v_cndmask_b32_e32 v116, v117, v116, vcc_lo
	v_mov_b32_e32 v117, v65
	s_delay_alu instid0(VALU_DEP_4) | instskip(NEXT) | instid1(VALU_DEP_1)
	v_cndmask_b32_e64 v45, v5, 0x78, vcc_lo
	v_dual_add_nc_u32 v4, 20, v45 :: v_dual_add_nc_u32 v46, 19, v45
	s_delay_alu instid0(VALU_DEP_1) | instskip(NEXT) | instid1(VALU_DEP_2)
	v_lshlrev_b64_e64 v[4:5], v4, -1
	v_lshlrev_b64_e64 v[46:47], v46, 1
	s_delay_alu instid0(VALU_DEP_2) | instskip(NEXT) | instid1(VALU_DEP_3)
	v_bfi_b32 v61, v5, 0, 0
	v_bfi_b32 v60, v4, 0, v116
	v_lshrrev_b64 v[4:5], v45, v[116:117]
	s_delay_alu instid0(VALU_DEP_1) | instskip(NEXT) | instid1(VALU_DEP_3)
	v_mov_b64_e32 v[116:117], v[4:5]
	v_cmpx_eq_u64_e64 v[60:61], v[46:47]
; %bb.142:                              ;   in Loop: Header=BB2_80 Depth=2
	v_bfe_u32 v116, v4, 20, 1
	v_mov_b32_e32 v117, v65
	s_delay_alu instid0(VALU_DEP_1) | instskip(NEXT) | instid1(VALU_DEP_1)
	v_add_nc_u64_e32 v[116:117], v[4:5], v[116:117]
	v_add_nc_u64_e32 v[116:117], -1, v[116:117]
; %bb.143:                              ;   in Loop: Header=BB2_80 Depth=2
	s_or_b32 exec_lo, exec_lo, s21
	v_add_nc_u32_e32 v5, 0xffffff81, v41
	v_lshrrev_b32_e32 v117, 23, v4
	s_mov_b32 s8, exec_lo
	s_delay_alu instid0(VALU_DEP_2) | instskip(NEXT) | instid1(VALU_DEP_1)
	v_cndmask_b32_e64 v5, v5, 0xffffff82, vcc_lo
	v_add3_u32 v117, v45, v5, v117
	v_and_b32_e32 v5, 0xfffff, v116
                                        ; implicit-def: $vgpr116
	s_delay_alu instid0(VALU_DEP_1) | instskip(SKIP_1) | instid1(VALU_DEP_2)
	v_dual_add_nc_u32 v41, 6, v117 :: v_dual_add_nc_u32 v4, v5, v4
	v_mov_b32_e32 v5, v65
	v_cmpx_ne_u32_e32 0, v41
	s_xor_b32 s8, exec_lo, s8
; %bb.144:                              ;   in Loop: Header=BB2_80 Depth=2
	s_delay_alu instid0(VALU_DEP_2) | instskip(SKIP_2) | instid1(VALU_DEP_2)
	v_cmp_lt_u64_e32 vcc_lo, 0xffffff, v[4:5]
	v_add_nc_u32_e32 v116, 7, v117
	v_cndmask_b32_e64 v117, 0, 1, vcc_lo
	v_cndmask_b32_e32 v116, v41, v116, vcc_lo
	s_delay_alu instid0(VALU_DEP_2)
	v_lshrrev_b64 v[4:5], v117, v[4:5]
; %bb.145:                              ;   in Loop: Header=BB2_80 Depth=2
	s_and_not1_saveexec_b32 s8, s8
; %bb.146:                              ;   in Loop: Header=BB2_80 Depth=2
	s_delay_alu instid0(VALU_DEP_1)
	v_bfe_u32 v116, v4, 23, 1
; %bb.147:                              ;   in Loop: Header=BB2_80 Depth=2
	s_or_b32 exec_lo, exec_lo, s8
	s_delay_alu instid0(VALU_DEP_2) | instskip(NEXT) | instid1(VALU_DEP_2)
	v_lshrrev_b64 v[4:5], 20, v[4:5]
	v_cmp_gt_i32_e32 vcc_lo, 16, v116
	v_min_i32_e32 v117, 15, v116
	v_cmp_eq_u32_e64 s8, 0, v116
	s_delay_alu instid0(VALU_DEP_4) | instskip(NEXT) | instid1(VALU_DEP_3)
	v_cndmask_b32_e32 v5, 0, v5, vcc_lo
	v_dual_cndmask_b32 v4, 7, v4 :: v_dual_lshlrev_b32 v117, 3, v117
	s_delay_alu instid0(VALU_DEP_1) | instskip(NEXT) | instid1(VALU_DEP_2)
	v_and_b32_e32 v117, 0xf8, v117
	v_cmp_eq_u64_e32 vcc_lo, 0, v[4:5]
	s_delay_alu instid0(VALU_DEP_2)
	v_and_or_b32 v4, v4, 7, v117
	s_and_b32 s8, s8, vcc_lo
	s_delay_alu instid0(VALU_DEP_1) | instid1(SALU_CYCLE_1)
	v_cndmask_b32_e64 v4, v4, 0, s8
	s_delay_alu instid0(VALU_DEP_1)
	v_or_b32_e32 v41, v4, v42
.LBB2_148:                              ;   in Loop: Header=BB2_80 Depth=2
	s_or_b32 exec_lo, exec_lo, s20
                                        ; implicit-def: $vgpr42
.LBB2_149:                              ;   in Loop: Header=BB2_80 Depth=2
	s_and_not1_saveexec_b32 s8, s19
; %bb.150:                              ;   in Loop: Header=BB2_80 Depth=2
	v_or_b32_e32 v41, 0x7e, v42
; %bb.151:                              ;   in Loop: Header=BB2_80 Depth=2
	s_or_b32 exec_lo, exec_lo, s8
                                        ; implicit-def: $vgpr5
.LBB2_152:                              ;   in Loop: Header=BB2_80 Depth=2
	s_and_not1_saveexec_b32 s8, s18
; %bb.153:                              ;   in Loop: Header=BB2_80 Depth=2
	v_or_b32_e32 v41, 0x7f, v5
; %bb.154:                              ;   in Loop: Header=BB2_80 Depth=2
	s_or_b32 exec_lo, exec_lo, s8
	v_mov_b32_e32 v5, 0
	s_mov_b32 s8, exec_lo
	v_cmpx_lt_u32_e32 0xffffff, v64
	s_cbranch_execz .LBB2_162
; %bb.155:                              ;   in Loop: Header=BB2_80 Depth=2
	v_lshrrev_b32_e32 v4, 24, v64
	v_bfrev_b32_e32 v5, 1
	s_mov_b32 s18, exec_lo
	s_delay_alu instid0(VALU_DEP_2)
	v_cmpx_ne_u32_e32 0x80, v4
	s_cbranch_execz .LBB2_161
; %bb.156:                              ;   in Loop: Header=BB2_80 Depth=2
	v_bfe_u32 v116, v64, 24, 7
	v_mov_b32_e32 v5, 0x7f800001
	s_mov_b32 s19, exec_lo
	s_delay_alu instid0(VALU_DEP_2)
	v_cmpx_ne_u32_e32 0x7f, v116
	s_cbranch_execz .LBB2_160
; %bb.157:                              ;   in Loop: Header=BB2_80 Depth=2
	v_and_b32_e32 v64, 7, v4
	v_lshrrev_b32_e32 v5, 3, v116
	s_mov_b32 s20, exec_lo
	v_cmpx_gt_u32_e32 8, v116
; %bb.158:                              ;   in Loop: Header=BB2_80 Depth=2
	s_delay_alu instid0(VALU_DEP_3) | instskip(NEXT) | instid1(VALU_DEP_1)
	v_clz_i32_u32_e32 v5, v64
	v_min_u32_e32 v5, 32, v5
	s_delay_alu instid0(VALU_DEP_1) | instskip(NEXT) | instid1(VALU_DEP_1)
	v_subrev_nc_u32_e32 v116, 28, v5
	v_lshlrev_b64_e32 v[116:117], v116, v[64:65]
	s_delay_alu instid0(VALU_DEP_1)
	v_dual_sub_nc_u32 v5, 29, v5 :: v_dual_bitop2_b32 v64, 7, v116 bitop3:0x40
; %bb.159:                              ;   in Loop: Header=BB2_80 Depth=2
	s_or_b32 exec_lo, exec_lo, s20
	v_lshlrev_b32_e32 v4, 24, v4
	s_delay_alu instid0(VALU_DEP_2) | instskip(NEXT) | instid1(VALU_DEP_3)
	v_lshlrev_b32_e32 v64, 20, v64
	v_lshl_add_u32 v5, v5, 23, 0x3c000000
	s_delay_alu instid0(VALU_DEP_3) | instskip(NEXT) | instid1(VALU_DEP_1)
	v_and_b32_e32 v4, 0x80000000, v4
	v_or3_b32 v5, v64, v4, v5
.LBB2_160:                              ;   in Loop: Header=BB2_80 Depth=2
	s_or_b32 exec_lo, exec_lo, s19
.LBB2_161:                              ;   in Loop: Header=BB2_80 Depth=2
	s_delay_alu instid0(SALU_CYCLE_1)
	s_or_b32 exec_lo, exec_lo, s18
.LBB2_162:                              ;   in Loop: Header=BB2_80 Depth=2
	s_delay_alu instid0(SALU_CYCLE_1) | instskip(NEXT) | instid1(VALU_DEP_1)
	s_or_b32 exec_lo, exec_lo, s8
	v_mul_f32_e32 v4, v30, v5
                                        ; implicit-def: $vgpr42
	s_mov_b32 s8, exec_lo
	s_delay_alu instid0(VALU_DEP_1) | instskip(SKIP_1) | instid1(VALU_DEP_2)
	v_and_b32_e32 v64, 0x7f800000, v4
	v_lshrrev_b32_e32 v5, 24, v4
	v_cmpx_ne_u64_e32 0x7f800000, v[64:65]
	s_xor_b32 s18, exec_lo, s8
	s_cbranch_execz .LBB2_176
; %bb.163:                              ;   in Loop: Header=BB2_80 Depth=2
	v_and_b32_e32 v64, 0x7fffffff, v4
	v_and_b32_e32 v45, 0x80, v5
                                        ; implicit-def: $vgpr42
	s_mov_b32 s8, exec_lo
	s_delay_alu instid0(VALU_DEP_2)
	v_cmpx_gt_u64_e32 0x43e00001, v[64:65]
	s_xor_b32 s19, exec_lo, s8
	s_cbranch_execz .LBB2_173
; %bb.164:                              ;   in Loop: Header=BB2_80 Depth=2
	v_mov_b32_e32 v42, 0
	s_mov_b32 s20, exec_lo
	v_cmpx_ne_u32_e32 0, v4
	s_cbranch_execz .LBB2_172
; %bb.165:                              ;   in Loop: Header=BB2_80 Depth=2
	v_bfe_u32 v42, v4, 23, 8
	v_and_b32_e32 v64, 0x7fffff, v4
	s_delay_alu instid0(VALU_DEP_2) | instskip(NEXT) | instid1(VALU_DEP_2)
	v_cmp_gt_u32_e32 vcc_lo, 0x7a, v42
	v_or_b32_e32 v116, 0x800000, v64
	v_sub_nc_u32_e32 v5, 0x79, v42
	s_delay_alu instid0(VALU_DEP_1) | instskip(SKIP_1) | instid1(VALU_DEP_2)
	v_cndmask_b32_e32 v5, 0, v5, vcc_lo
	v_cmp_eq_u32_e32 vcc_lo, 0, v42
	v_cndmask_b32_e64 v46, v5, 0x78, vcc_lo
	s_delay_alu instid0(VALU_DEP_1) | instskip(SKIP_1) | instid1(VALU_DEP_2)
	v_dual_cndmask_b32 v64, v116, v64, vcc_lo :: v_dual_add_nc_u32 v4, 20, v46
	v_add_nc_u32_e32 v117, 19, v46
	v_lshlrev_b64_e64 v[4:5], v4, -1
	s_delay_alu instid0(VALU_DEP_2) | instskip(NEXT) | instid1(VALU_DEP_2)
	v_lshlrev_b64_e64 v[116:117], v117, 1
	v_bfi_b32 v61, v5, 0, 0
	s_delay_alu instid0(VALU_DEP_3) | instskip(SKIP_1) | instid1(VALU_DEP_2)
	v_bfi_b32 v60, v4, 0, v64
	v_lshrrev_b64 v[4:5], v46, v[64:65]
	v_cmp_eq_u64_e64 s8, v[60:61], v[116:117]
	s_delay_alu instid0(VALU_DEP_2)
	v_mov_b64_e32 v[116:117], v[4:5]
	s_and_saveexec_b32 s21, s8
; %bb.166:                              ;   in Loop: Header=BB2_80 Depth=2
	v_bfe_u32 v64, v4, 20, 1
	s_delay_alu instid0(VALU_DEP_1) | instskip(NEXT) | instid1(VALU_DEP_1)
	v_add_nc_u64_e32 v[116:117], v[4:5], v[64:65]
	v_add_nc_u64_e32 v[116:117], -1, v[116:117]
; %bb.167:                              ;   in Loop: Header=BB2_80 Depth=2
	s_or_b32 exec_lo, exec_lo, s21
	v_add_nc_u32_e32 v5, 0xffffff81, v42
	v_lshrrev_b32_e32 v64, 23, v4
	s_mov_b32 s8, exec_lo
	s_delay_alu instid0(VALU_DEP_2) | instskip(NEXT) | instid1(VALU_DEP_1)
	v_cndmask_b32_e64 v5, v5, 0xffffff82, vcc_lo
	v_add3_u32 v117, v46, v5, v64
	v_and_b32_e32 v5, 0xfffff, v116
                                        ; implicit-def: $vgpr116
	s_delay_alu instid0(VALU_DEP_1) | instskip(NEXT) | instid1(VALU_DEP_1)
	v_dual_add_nc_u32 v42, 6, v117 :: v_dual_add_nc_u32 v64, v5, v4
                                        ; implicit-def: $vgpr4_vgpr5
	v_cmpx_ne_u32_e32 0, v42
	s_xor_b32 s8, exec_lo, s8
; %bb.168:                              ;   in Loop: Header=BB2_80 Depth=2
	s_delay_alu instid0(VALU_DEP_2) | instskip(SKIP_1) | instid1(VALU_DEP_1)
	v_cmp_lt_u64_e32 vcc_lo, 0xffffff, v[64:65]
	v_add_nc_u32_e32 v4, 7, v117
	v_cndmask_b32_e32 v116, v42, v4, vcc_lo
	v_cndmask_b32_e64 v4, 0, 1, vcc_lo
	s_delay_alu instid0(VALU_DEP_1)
	v_lshrrev_b64 v[4:5], v4, v[64:65]
; %bb.169:                              ;   in Loop: Header=BB2_80 Depth=2
	s_and_not1_saveexec_b32 s8, s8
; %bb.170:                              ;   in Loop: Header=BB2_80 Depth=2
	v_mov_b64_e32 v[4:5], v[64:65]
	v_bfe_u32 v116, v64, 23, 1
; %bb.171:                              ;   in Loop: Header=BB2_80 Depth=2
	s_or_b32 exec_lo, exec_lo, s8
	s_delay_alu instid0(VALU_DEP_2) | instskip(NEXT) | instid1(VALU_DEP_2)
	v_lshrrev_b64 v[4:5], 20, v[4:5]
	v_cmp_gt_i32_e32 vcc_lo, 16, v116
	v_min_i32_e32 v64, 15, v116
	v_cmp_eq_u32_e64 s8, 0, v116
	s_delay_alu instid0(VALU_DEP_2) | instskip(SKIP_1) | instid1(VALU_DEP_2)
	v_dual_cndmask_b32 v5, 0, v5 :: v_dual_lshlrev_b32 v64, 3, v64
	v_cndmask_b32_e32 v4, 7, v4, vcc_lo
	v_and_b32_e32 v64, 0xf8, v64
	s_delay_alu instid0(VALU_DEP_2) | instskip(NEXT) | instid1(VALU_DEP_2)
	v_cmp_eq_u64_e32 vcc_lo, 0, v[4:5]
	v_and_or_b32 v4, v4, 7, v64
	s_and_b32 s8, s8, vcc_lo
	s_delay_alu instid0(VALU_DEP_1) | instid1(SALU_CYCLE_1)
	v_cndmask_b32_e64 v4, v4, 0, s8
	s_delay_alu instid0(VALU_DEP_1)
	v_or_b32_e32 v42, v4, v45
.LBB2_172:                              ;   in Loop: Header=BB2_80 Depth=2
	s_or_b32 exec_lo, exec_lo, s20
                                        ; implicit-def: $vgpr45
.LBB2_173:                              ;   in Loop: Header=BB2_80 Depth=2
	s_and_not1_saveexec_b32 s8, s19
; %bb.174:                              ;   in Loop: Header=BB2_80 Depth=2
	v_or_b32_e32 v42, 0x7e, v45
; %bb.175:                              ;   in Loop: Header=BB2_80 Depth=2
	s_or_b32 exec_lo, exec_lo, s8
                                        ; implicit-def: $vgpr5
.LBB2_176:                              ;   in Loop: Header=BB2_80 Depth=2
	s_and_not1_saveexec_b32 s8, s18
; %bb.177:                              ;   in Loop: Header=BB2_80 Depth=2
	v_or_b32_e32 v42, 0x7f, v5
; %bb.178:                              ;   in Loop: Header=BB2_80 Depth=2
	s_or_b32 exec_lo, exec_lo, s8
	v_alignbit_b32 v64, v43, v44, v118
	v_mov_b32_e32 v4, 0
	s_mov_b32 s8, exec_lo
	s_delay_alu instid0(VALU_DEP_2) | instskip(NEXT) | instid1(VALU_DEP_1)
	v_and_b32_e32 v5, 0xff, v64
	v_cmpx_ne_u16_e32 0, v5
	s_cbranch_execz .LBB2_184
; %bb.179:                              ;   in Loop: Header=BB2_80 Depth=2
	v_bfrev_b32_e32 v4, 1
	s_mov_b32 s18, exec_lo
	v_cmpx_ne_u16_e32 0x80, v5
	s_cbranch_execz .LBB2_183
; %bb.180:                              ;   in Loop: Header=BB2_80 Depth=2
	v_and_b32_e32 v5, 0x7f, v64
	v_mov_b32_e32 v4, 0x7f800001
	s_mov_b32 s19, exec_lo
	s_delay_alu instid0(VALU_DEP_2)
	v_cmpx_ne_u32_e32 0x7f, v5
	s_cbranch_execz .LBB2_182
; %bb.181:                              ;   in Loop: Header=BB2_80 Depth=2
	v_dual_lshrrev_b32 v116, 3, v5 :: v_dual_bitop2_b32 v4, 7, v64 bitop3:0x40
	v_cmp_gt_u32_e32 vcc_lo, 8, v5
	s_delay_alu instid0(VALU_DEP_2) | instskip(NEXT) | instid1(VALU_DEP_1)
	v_clz_i32_u32_e32 v4, v4
	v_min_u32_e32 v4, 32, v4
	s_delay_alu instid0(VALU_DEP_1) | instskip(SKIP_1) | instid1(VALU_DEP_1)
	v_subrev_nc_u32_e32 v117, 28, v4
	v_sub_nc_u32_e32 v4, 29, v4
	v_dual_cndmask_b32 v116, v116, v4, vcc_lo :: v_dual_cndmask_b32 v4, 0, v117, vcc_lo
	s_delay_alu instid0(VALU_DEP_1) | instskip(NEXT) | instid1(VALU_DEP_2)
	v_lshl_add_u32 v116, v116, 23, 0x3c000000
	v_lshlrev_b64_e32 v[4:5], v4, v[64:65]
	v_lshlrev_b32_e32 v5, 24, v64
	s_delay_alu instid0(VALU_DEP_1) | instskip(NEXT) | instid1(VALU_DEP_3)
	v_and_b32_e32 v5, 0x80000000, v5
	v_lshlrev_b32_e32 v4, 20, v4
	s_delay_alu instid0(VALU_DEP_1) | instskip(NEXT) | instid1(VALU_DEP_1)
	v_and_b32_e32 v4, 0x700000, v4
	v_or3_b32 v4, v4, v5, v116
.LBB2_182:                              ;   in Loop: Header=BB2_80 Depth=2
	s_or_b32 exec_lo, exec_lo, s19
.LBB2_183:                              ;   in Loop: Header=BB2_80 Depth=2
	s_delay_alu instid0(SALU_CYCLE_1)
	s_or_b32 exec_lo, exec_lo, s18
.LBB2_184:                              ;   in Loop: Header=BB2_80 Depth=2
	s_delay_alu instid0(SALU_CYCLE_1) | instskip(NEXT) | instid1(VALU_DEP_1)
	s_or_b32 exec_lo, exec_lo, s8
	v_dual_mul_f32 v4, v30, v4 :: v_dual_mov_b32 v117, v65
                                        ; implicit-def: $vgpr43
	s_mov_b32 s8, exec_lo
	s_delay_alu instid0(VALU_DEP_1) | instskip(SKIP_1) | instid1(VALU_DEP_2)
	v_and_b32_e32 v116, 0x7f800000, v4
	v_lshrrev_b32_e32 v5, 24, v4
	v_cmpx_ne_u64_e32 0x7f800000, v[116:117]
	s_xor_b32 s18, exec_lo, s8
	s_cbranch_execz .LBB2_198
; %bb.185:                              ;   in Loop: Header=BB2_80 Depth=2
	v_and_b32_e32 v116, 0x7fffffff, v4
	v_mov_b32_e32 v117, v65
	v_and_b32_e32 v44, 0x80, v5
                                        ; implicit-def: $vgpr43
	s_mov_b32 s8, exec_lo
	s_delay_alu instid0(VALU_DEP_2)
	v_cmpx_gt_u64_e32 0x43e00001, v[116:117]
	s_xor_b32 s19, exec_lo, s8
	s_cbranch_execz .LBB2_195
; %bb.186:                              ;   in Loop: Header=BB2_80 Depth=2
	v_mov_b32_e32 v43, 0
	s_mov_b32 s20, exec_lo
	v_cmpx_ne_u32_e32 0, v4
	s_cbranch_execz .LBB2_194
; %bb.187:                              ;   in Loop: Header=BB2_80 Depth=2
	v_bfe_u32 v43, v4, 23, 8
	v_and_b32_e32 v116, 0x7fffff, v4
	s_mov_b32 s21, exec_lo
	s_delay_alu instid0(VALU_DEP_2) | instskip(NEXT) | instid1(VALU_DEP_2)
	v_cmp_gt_u32_e32 vcc_lo, 0x7a, v43
	v_or_b32_e32 v117, 0x800000, v116
	v_sub_nc_u32_e32 v5, 0x79, v43
	s_delay_alu instid0(VALU_DEP_1) | instskip(SKIP_1) | instid1(VALU_DEP_4)
	v_cndmask_b32_e32 v5, 0, v5, vcc_lo
	v_cmp_eq_u32_e32 vcc_lo, 0, v43
	v_cndmask_b32_e32 v116, v117, v116, vcc_lo
	v_mov_b32_e32 v117, v65
	s_delay_alu instid0(VALU_DEP_4) | instskip(NEXT) | instid1(VALU_DEP_1)
	v_cndmask_b32_e64 v45, v5, 0x78, vcc_lo
	v_dual_add_nc_u32 v4, 20, v45 :: v_dual_add_nc_u32 v46, 19, v45
	s_delay_alu instid0(VALU_DEP_1) | instskip(NEXT) | instid1(VALU_DEP_2)
	v_lshlrev_b64_e64 v[4:5], v4, -1
	v_lshlrev_b64_e64 v[46:47], v46, 1
	s_delay_alu instid0(VALU_DEP_2) | instskip(NEXT) | instid1(VALU_DEP_3)
	v_bfi_b32 v61, v5, 0, 0
	v_bfi_b32 v60, v4, 0, v116
	v_lshrrev_b64 v[4:5], v45, v[116:117]
	s_delay_alu instid0(VALU_DEP_1) | instskip(NEXT) | instid1(VALU_DEP_3)
	v_mov_b64_e32 v[116:117], v[4:5]
	v_cmpx_eq_u64_e64 v[60:61], v[46:47]
; %bb.188:                              ;   in Loop: Header=BB2_80 Depth=2
	v_bfe_u32 v116, v4, 20, 1
	v_mov_b32_e32 v117, v65
	s_delay_alu instid0(VALU_DEP_1) | instskip(NEXT) | instid1(VALU_DEP_1)
	v_add_nc_u64_e32 v[116:117], v[4:5], v[116:117]
	v_add_nc_u64_e32 v[116:117], -1, v[116:117]
; %bb.189:                              ;   in Loop: Header=BB2_80 Depth=2
	s_or_b32 exec_lo, exec_lo, s21
	v_add_nc_u32_e32 v5, 0xffffff81, v43
	v_lshrrev_b32_e32 v117, 23, v4
	s_mov_b32 s8, exec_lo
	s_delay_alu instid0(VALU_DEP_2) | instskip(NEXT) | instid1(VALU_DEP_1)
	v_cndmask_b32_e64 v5, v5, 0xffffff82, vcc_lo
	v_add3_u32 v117, v45, v5, v117
	v_and_b32_e32 v5, 0xfffff, v116
                                        ; implicit-def: $vgpr116
	s_delay_alu instid0(VALU_DEP_1) | instskip(SKIP_1) | instid1(VALU_DEP_2)
	v_dual_add_nc_u32 v43, 6, v117 :: v_dual_add_nc_u32 v4, v5, v4
	v_mov_b32_e32 v5, v65
	v_cmpx_ne_u32_e32 0, v43
	s_xor_b32 s8, exec_lo, s8
; %bb.190:                              ;   in Loop: Header=BB2_80 Depth=2
	s_delay_alu instid0(VALU_DEP_2) | instskip(SKIP_2) | instid1(VALU_DEP_2)
	v_cmp_lt_u64_e32 vcc_lo, 0xffffff, v[4:5]
	v_add_nc_u32_e32 v116, 7, v117
	v_cndmask_b32_e64 v117, 0, 1, vcc_lo
	v_cndmask_b32_e32 v116, v43, v116, vcc_lo
	s_delay_alu instid0(VALU_DEP_2)
	v_lshrrev_b64 v[4:5], v117, v[4:5]
; %bb.191:                              ;   in Loop: Header=BB2_80 Depth=2
	s_and_not1_saveexec_b32 s8, s8
; %bb.192:                              ;   in Loop: Header=BB2_80 Depth=2
	s_delay_alu instid0(VALU_DEP_1)
	v_bfe_u32 v116, v4, 23, 1
; %bb.193:                              ;   in Loop: Header=BB2_80 Depth=2
	s_or_b32 exec_lo, exec_lo, s8
	s_delay_alu instid0(VALU_DEP_2) | instskip(NEXT) | instid1(VALU_DEP_2)
	v_lshrrev_b64 v[4:5], 20, v[4:5]
	v_cmp_gt_i32_e32 vcc_lo, 16, v116
	v_min_i32_e32 v117, 15, v116
	v_cmp_eq_u32_e64 s8, 0, v116
	s_delay_alu instid0(VALU_DEP_4) | instskip(NEXT) | instid1(VALU_DEP_3)
	v_cndmask_b32_e32 v5, 0, v5, vcc_lo
	v_dual_cndmask_b32 v4, 7, v4 :: v_dual_lshlrev_b32 v117, 3, v117
	s_delay_alu instid0(VALU_DEP_1) | instskip(NEXT) | instid1(VALU_DEP_2)
	v_and_b32_e32 v117, 0xf8, v117
	v_cmp_eq_u64_e32 vcc_lo, 0, v[4:5]
	s_delay_alu instid0(VALU_DEP_2)
	v_and_or_b32 v4, v4, 7, v117
	s_and_b32 s8, s8, vcc_lo
	s_delay_alu instid0(VALU_DEP_1) | instid1(SALU_CYCLE_1)
	v_cndmask_b32_e64 v4, v4, 0, s8
	s_delay_alu instid0(VALU_DEP_1)
	v_or_b32_e32 v43, v4, v44
.LBB2_194:                              ;   in Loop: Header=BB2_80 Depth=2
	s_or_b32 exec_lo, exec_lo, s20
                                        ; implicit-def: $vgpr44
.LBB2_195:                              ;   in Loop: Header=BB2_80 Depth=2
	s_and_not1_saveexec_b32 s8, s19
; %bb.196:                              ;   in Loop: Header=BB2_80 Depth=2
	v_or_b32_e32 v43, 0x7e, v44
; %bb.197:                              ;   in Loop: Header=BB2_80 Depth=2
	s_or_b32 exec_lo, exec_lo, s8
                                        ; implicit-def: $vgpr5
.LBB2_198:                              ;   in Loop: Header=BB2_80 Depth=2
	s_and_not1_saveexec_b32 s8, s18
; %bb.199:                              ;   in Loop: Header=BB2_80 Depth=2
	v_or_b32_e32 v43, 0x7f, v5
; %bb.200:                              ;   in Loop: Header=BB2_80 Depth=2
	s_or_b32 exec_lo, exec_lo, s8
	v_lshrrev_b16 v5, 8, v64
	v_mov_b32_e32 v4, 0
	s_mov_b32 s8, exec_lo
	s_delay_alu instid0(VALU_DEP_2)
	v_cmpx_ne_u16_e32 0, v5
	s_cbranch_execz .LBB2_208
; %bb.201:                              ;   in Loop: Header=BB2_80 Depth=2
	v_bfrev_b32_e32 v4, 1
	s_mov_b32 s18, exec_lo
	v_cmpx_ne_u16_e32 0x80, v5
	s_cbranch_execz .LBB2_207
; %bb.202:                              ;   in Loop: Header=BB2_80 Depth=2
	v_and_b32_e32 v5, 0xffff, v5
	v_mov_b32_e32 v4, 0x7f800001
	s_mov_b32 s19, exec_lo
	s_delay_alu instid0(VALU_DEP_2) | instskip(NEXT) | instid1(VALU_DEP_1)
	v_and_b32_e32 v117, 0x7f, v5
	v_cmpx_ne_u32_e32 0x7f, v117
	s_cbranch_execz .LBB2_206
; %bb.203:                              ;   in Loop: Header=BB2_80 Depth=2
	v_dual_mov_b32 v5, v65 :: v_dual_bitop2_b32 v4, 7, v5 bitop3:0x40
	v_lshrrev_b32_e32 v116, 3, v117
	s_mov_b32 s20, exec_lo
	v_cmpx_gt_u32_e32 8, v117
; %bb.204:                              ;   in Loop: Header=BB2_80 Depth=2
	s_delay_alu instid0(VALU_DEP_3) | instskip(NEXT) | instid1(VALU_DEP_1)
	v_clz_i32_u32_e32 v116, v4
	v_min_u32_e32 v116, 32, v116
	s_delay_alu instid0(VALU_DEP_1) | instskip(SKIP_1) | instid1(VALU_DEP_2)
	v_subrev_nc_u32_e32 v117, 28, v116
	v_sub_nc_u32_e32 v116, 29, v116
	v_lshlrev_b64_e32 v[4:5], v117, v[4:5]
	s_delay_alu instid0(VALU_DEP_1)
	v_and_b32_e32 v4, 7, v4
; %bb.205:                              ;   in Loop: Header=BB2_80 Depth=2
	s_or_b32 exec_lo, exec_lo, s20
	v_lshlrev_b32_e32 v5, 16, v64
	s_delay_alu instid0(VALU_DEP_2) | instskip(SKIP_1) | instid1(VALU_DEP_3)
	v_lshlrev_b32_e32 v4, 20, v4
	v_lshl_add_u32 v116, v116, 23, 0x3c000000
	v_and_b32_e32 v5, 0x80000000, v5
	s_delay_alu instid0(VALU_DEP_1)
	v_or3_b32 v4, v4, v5, v116
.LBB2_206:                              ;   in Loop: Header=BB2_80 Depth=2
	s_or_b32 exec_lo, exec_lo, s19
.LBB2_207:                              ;   in Loop: Header=BB2_80 Depth=2
	s_delay_alu instid0(SALU_CYCLE_1)
	s_or_b32 exec_lo, exec_lo, s18
.LBB2_208:                              ;   in Loop: Header=BB2_80 Depth=2
	s_delay_alu instid0(SALU_CYCLE_1) | instskip(NEXT) | instid1(VALU_DEP_1)
	s_or_b32 exec_lo, exec_lo, s8
	v_dual_mul_f32 v4, v30, v4 :: v_dual_mov_b32 v117, v65
                                        ; implicit-def: $vgpr44
	s_mov_b32 s8, exec_lo
	s_delay_alu instid0(VALU_DEP_1) | instskip(SKIP_1) | instid1(VALU_DEP_2)
	v_and_b32_e32 v116, 0x7f800000, v4
	v_lshrrev_b32_e32 v5, 24, v4
	v_cmpx_ne_u64_e32 0x7f800000, v[116:117]
	s_xor_b32 s18, exec_lo, s8
	s_cbranch_execz .LBB2_222
; %bb.209:                              ;   in Loop: Header=BB2_80 Depth=2
	v_and_b32_e32 v116, 0x7fffffff, v4
	v_mov_b32_e32 v117, v65
	v_and_b32_e32 v45, 0x80, v5
                                        ; implicit-def: $vgpr44
	s_mov_b32 s8, exec_lo
	s_delay_alu instid0(VALU_DEP_2)
	v_cmpx_gt_u64_e32 0x43e00001, v[116:117]
	s_xor_b32 s19, exec_lo, s8
	s_cbranch_execz .LBB2_219
; %bb.210:                              ;   in Loop: Header=BB2_80 Depth=2
	v_mov_b32_e32 v44, 0
	s_mov_b32 s20, exec_lo
	v_cmpx_ne_u32_e32 0, v4
	s_cbranch_execz .LBB2_218
; %bb.211:                              ;   in Loop: Header=BB2_80 Depth=2
	v_bfe_u32 v44, v4, 23, 8
	v_and_b32_e32 v116, 0x7fffff, v4
	s_mov_b32 s21, exec_lo
	s_delay_alu instid0(VALU_DEP_2) | instskip(SKIP_1) | instid1(VALU_DEP_3)
	v_sub_nc_u32_e32 v5, 0x79, v44
	v_cmp_gt_u32_e32 vcc_lo, 0x7a, v44
	v_or_b32_e32 v117, 0x800000, v116
	s_delay_alu instid0(VALU_DEP_3) | instskip(SKIP_1) | instid1(VALU_DEP_2)
	v_cndmask_b32_e32 v5, 0, v5, vcc_lo
	v_cmp_eq_u32_e32 vcc_lo, 0, v44
	v_cndmask_b32_e64 v46, v5, 0x78, vcc_lo
	s_delay_alu instid0(VALU_DEP_4) | instskip(NEXT) | instid1(VALU_DEP_2)
	v_cndmask_b32_e32 v116, v117, v116, vcc_lo
	v_dual_mov_b32 v117, v65 :: v_dual_add_nc_u32 v4, 20, v46
	v_add_nc_u32_e32 v47, 19, v46
	s_delay_alu instid0(VALU_DEP_2) | instskip(NEXT) | instid1(VALU_DEP_2)
	v_lshlrev_b64_e64 v[4:5], v4, -1
	v_lshlrev_b64_e64 v[60:61], v47, 1
	s_delay_alu instid0(VALU_DEP_2) | instskip(NEXT) | instid1(VALU_DEP_3)
	v_bfi_b32 v63, v5, 0, 0
	v_bfi_b32 v62, v4, 0, v116
	v_lshrrev_b64 v[4:5], v46, v[116:117]
	s_delay_alu instid0(VALU_DEP_1) | instskip(NEXT) | instid1(VALU_DEP_3)
	v_mov_b64_e32 v[116:117], v[4:5]
	v_cmpx_eq_u64_e64 v[62:63], v[60:61]
; %bb.212:                              ;   in Loop: Header=BB2_80 Depth=2
	v_bfe_u32 v116, v4, 20, 1
	v_mov_b32_e32 v117, v65
	s_delay_alu instid0(VALU_DEP_1) | instskip(NEXT) | instid1(VALU_DEP_1)
	v_add_nc_u64_e32 v[116:117], v[4:5], v[116:117]
	v_add_nc_u64_e32 v[116:117], -1, v[116:117]
; %bb.213:                              ;   in Loop: Header=BB2_80 Depth=2
	s_or_b32 exec_lo, exec_lo, s21
	v_add_nc_u32_e32 v5, 0xffffff81, v44
	v_lshrrev_b32_e32 v117, 23, v4
	s_mov_b32 s8, exec_lo
	s_delay_alu instid0(VALU_DEP_2) | instskip(NEXT) | instid1(VALU_DEP_1)
	v_cndmask_b32_e64 v5, v5, 0xffffff82, vcc_lo
	v_add3_u32 v117, v46, v5, v117
	v_and_b32_e32 v5, 0xfffff, v116
                                        ; implicit-def: $vgpr116
	s_delay_alu instid0(VALU_DEP_1) | instskip(SKIP_1) | instid1(VALU_DEP_2)
	v_dual_add_nc_u32 v44, 6, v117 :: v_dual_add_nc_u32 v4, v5, v4
	v_mov_b32_e32 v5, v65
	v_cmpx_ne_u32_e32 0, v44
	s_xor_b32 s8, exec_lo, s8
; %bb.214:                              ;   in Loop: Header=BB2_80 Depth=2
	s_delay_alu instid0(VALU_DEP_2) | instskip(SKIP_2) | instid1(VALU_DEP_2)
	v_cmp_lt_u64_e32 vcc_lo, 0xffffff, v[4:5]
	v_add_nc_u32_e32 v116, 7, v117
	v_cndmask_b32_e64 v117, 0, 1, vcc_lo
	v_cndmask_b32_e32 v116, v44, v116, vcc_lo
	s_delay_alu instid0(VALU_DEP_2)
	v_lshrrev_b64 v[4:5], v117, v[4:5]
; %bb.215:                              ;   in Loop: Header=BB2_80 Depth=2
	s_and_not1_saveexec_b32 s8, s8
; %bb.216:                              ;   in Loop: Header=BB2_80 Depth=2
	s_delay_alu instid0(VALU_DEP_1)
	v_bfe_u32 v116, v4, 23, 1
; %bb.217:                              ;   in Loop: Header=BB2_80 Depth=2
	s_or_b32 exec_lo, exec_lo, s8
	s_delay_alu instid0(VALU_DEP_2) | instskip(NEXT) | instid1(VALU_DEP_2)
	v_lshrrev_b64 v[4:5], 20, v[4:5]
	v_cmp_gt_i32_e32 vcc_lo, 16, v116
	v_min_i32_e32 v117, 15, v116
	v_cmp_eq_u32_e64 s8, 0, v116
	s_delay_alu instid0(VALU_DEP_4) | instskip(NEXT) | instid1(VALU_DEP_3)
	v_cndmask_b32_e32 v5, 0, v5, vcc_lo
	v_dual_cndmask_b32 v4, 7, v4 :: v_dual_lshlrev_b32 v117, 3, v117
	s_delay_alu instid0(VALU_DEP_1) | instskip(NEXT) | instid1(VALU_DEP_2)
	v_and_b32_e32 v117, 0xf8, v117
	v_cmp_eq_u64_e32 vcc_lo, 0, v[4:5]
	s_delay_alu instid0(VALU_DEP_2)
	v_and_or_b32 v4, v4, 7, v117
	s_and_b32 s8, s8, vcc_lo
	s_delay_alu instid0(VALU_DEP_1) | instid1(SALU_CYCLE_1)
	v_cndmask_b32_e64 v4, v4, 0, s8
	s_delay_alu instid0(VALU_DEP_1)
	v_or_b32_e32 v44, v4, v45
.LBB2_218:                              ;   in Loop: Header=BB2_80 Depth=2
	s_or_b32 exec_lo, exec_lo, s20
                                        ; implicit-def: $vgpr45
.LBB2_219:                              ;   in Loop: Header=BB2_80 Depth=2
	s_and_not1_saveexec_b32 s8, s19
; %bb.220:                              ;   in Loop: Header=BB2_80 Depth=2
	v_or_b32_e32 v44, 0x7e, v45
; %bb.221:                              ;   in Loop: Header=BB2_80 Depth=2
	s_or_b32 exec_lo, exec_lo, s8
                                        ; implicit-def: $vgpr5
.LBB2_222:                              ;   in Loop: Header=BB2_80 Depth=2
	s_and_not1_saveexec_b32 s8, s18
; %bb.223:                              ;   in Loop: Header=BB2_80 Depth=2
	v_or_b32_e32 v44, 0x7f, v5
; %bb.224:                              ;   in Loop: Header=BB2_80 Depth=2
	s_or_b32 exec_lo, exec_lo, s8
	v_dual_lshrrev_b32 v116, 16, v64 :: v_dual_mov_b32 v4, 0
	s_mov_b32 s8, exec_lo
	s_delay_alu instid0(VALU_DEP_1) | instskip(NEXT) | instid1(VALU_DEP_1)
	v_and_b32_e32 v5, 0xff, v116
	v_cmpx_ne_u16_e32 0, v5
	s_cbranch_execz .LBB2_232
; %bb.225:                              ;   in Loop: Header=BB2_80 Depth=2
	v_bfrev_b32_e32 v4, 1
	s_mov_b32 s18, exec_lo
	v_cmpx_ne_u16_e32 0x80, v5
	s_cbranch_execz .LBB2_231
; %bb.226:                              ;   in Loop: Header=BB2_80 Depth=2
	v_bfe_u32 v45, v64, 16, 7
	v_mov_b32_e32 v4, 0x7f800001
	s_mov_b32 s19, exec_lo
	s_delay_alu instid0(VALU_DEP_2)
	v_cmpx_ne_u32_e32 0x7f, v45
	s_cbranch_execz .LBB2_230
; %bb.227:                              ;   in Loop: Header=BB2_80 Depth=2
	v_dual_mov_b32 v5, v65 :: v_dual_bitop2_b32 v4, 7, v116 bitop3:0x40
	v_lshrrev_b32_e32 v117, 3, v45
	s_mov_b32 s20, exec_lo
	v_cmpx_gt_u32_e32 8, v45
; %bb.228:                              ;   in Loop: Header=BB2_80 Depth=2
	s_delay_alu instid0(VALU_DEP_3) | instskip(NEXT) | instid1(VALU_DEP_1)
	v_clz_i32_u32_e32 v117, v4
	v_min_u32_e32 v117, 32, v117
	s_delay_alu instid0(VALU_DEP_1) | instskip(NEXT) | instid1(VALU_DEP_1)
	v_subrev_nc_u32_e32 v45, 28, v117
	v_lshlrev_b64_e32 v[4:5], v45, v[4:5]
	s_delay_alu instid0(VALU_DEP_1)
	v_dual_sub_nc_u32 v117, 29, v117 :: v_dual_bitop2_b32 v4, 7, v4 bitop3:0x40
; %bb.229:                              ;   in Loop: Header=BB2_80 Depth=2
	s_or_b32 exec_lo, exec_lo, s20
	v_lshlrev_b32_e32 v5, 24, v116
	s_delay_alu instid0(VALU_DEP_2) | instskip(NEXT) | instid1(VALU_DEP_3)
	v_lshlrev_b32_e32 v4, 20, v4
	v_lshl_add_u32 v116, v117, 23, 0x3c000000
	s_delay_alu instid0(VALU_DEP_3) | instskip(NEXT) | instid1(VALU_DEP_1)
	v_and_b32_e32 v5, 0x80000000, v5
	v_or3_b32 v4, v4, v5, v116
.LBB2_230:                              ;   in Loop: Header=BB2_80 Depth=2
	s_or_b32 exec_lo, exec_lo, s19
.LBB2_231:                              ;   in Loop: Header=BB2_80 Depth=2
	s_delay_alu instid0(SALU_CYCLE_1)
	s_or_b32 exec_lo, exec_lo, s18
.LBB2_232:                              ;   in Loop: Header=BB2_80 Depth=2
	s_delay_alu instid0(SALU_CYCLE_1) | instskip(NEXT) | instid1(VALU_DEP_1)
	s_or_b32 exec_lo, exec_lo, s8
	v_dual_mul_f32 v4, v30, v4 :: v_dual_mov_b32 v117, v65
                                        ; implicit-def: $vgpr45
	s_mov_b32 s8, exec_lo
	s_delay_alu instid0(VALU_DEP_1) | instskip(SKIP_1) | instid1(VALU_DEP_2)
	v_and_b32_e32 v116, 0x7f800000, v4
	v_lshrrev_b32_e32 v5, 24, v4
	v_cmpx_ne_u64_e32 0x7f800000, v[116:117]
	s_xor_b32 s18, exec_lo, s8
	s_cbranch_execz .LBB2_246
; %bb.233:                              ;   in Loop: Header=BB2_80 Depth=2
	v_and_b32_e32 v116, 0x7fffffff, v4
	v_mov_b32_e32 v117, v65
	v_and_b32_e32 v46, 0x80, v5
                                        ; implicit-def: $vgpr45
	s_mov_b32 s8, exec_lo
	s_delay_alu instid0(VALU_DEP_2)
	v_cmpx_gt_u64_e32 0x43e00001, v[116:117]
	s_xor_b32 s19, exec_lo, s8
	s_cbranch_execz .LBB2_243
; %bb.234:                              ;   in Loop: Header=BB2_80 Depth=2
	v_mov_b32_e32 v45, 0
	s_mov_b32 s20, exec_lo
	v_cmpx_ne_u32_e32 0, v4
	s_cbranch_execz .LBB2_242
; %bb.235:                              ;   in Loop: Header=BB2_80 Depth=2
	v_bfe_u32 v45, v4, 23, 8
	v_and_b32_e32 v116, 0x7fffff, v4
	s_mov_b32 s21, exec_lo
	s_delay_alu instid0(VALU_DEP_2) | instskip(NEXT) | instid1(VALU_DEP_2)
	v_cmp_gt_u32_e32 vcc_lo, 0x7a, v45
	v_or_b32_e32 v117, 0x800000, v116
	v_sub_nc_u32_e32 v5, 0x79, v45
	s_delay_alu instid0(VALU_DEP_1) | instskip(SKIP_1) | instid1(VALU_DEP_2)
	v_cndmask_b32_e32 v5, 0, v5, vcc_lo
	v_cmp_eq_u32_e32 vcc_lo, 0, v45
	v_cndmask_b32_e64 v47, v5, 0x78, vcc_lo
	v_cndmask_b32_e32 v116, v117, v116, vcc_lo
	s_delay_alu instid0(VALU_DEP_2) | instskip(SKIP_1) | instid1(VALU_DEP_2)
	v_dual_mov_b32 v117, v65 :: v_dual_add_nc_u32 v60, 19, v47
	v_add_nc_u32_e32 v4, 20, v47
	v_lshlrev_b64_e64 v[60:61], v60, 1
	s_delay_alu instid0(VALU_DEP_2) | instskip(NEXT) | instid1(VALU_DEP_1)
	v_lshlrev_b64_e64 v[4:5], v4, -1
	v_bfi_b32 v63, v5, 0, 0
	s_delay_alu instid0(VALU_DEP_2) | instskip(SKIP_1) | instid1(VALU_DEP_1)
	v_bfi_b32 v62, v4, 0, v116
	v_lshrrev_b64 v[4:5], v47, v[116:117]
	v_mov_b64_e32 v[116:117], v[4:5]
	s_delay_alu instid0(VALU_DEP_3)
	v_cmpx_eq_u64_e64 v[62:63], v[60:61]
; %bb.236:                              ;   in Loop: Header=BB2_80 Depth=2
	v_bfe_u32 v116, v4, 20, 1
	v_mov_b32_e32 v117, v65
	s_delay_alu instid0(VALU_DEP_1) | instskip(NEXT) | instid1(VALU_DEP_1)
	v_add_nc_u64_e32 v[116:117], v[4:5], v[116:117]
	v_add_nc_u64_e32 v[116:117], -1, v[116:117]
; %bb.237:                              ;   in Loop: Header=BB2_80 Depth=2
	s_or_b32 exec_lo, exec_lo, s21
	v_add_nc_u32_e32 v5, 0xffffff81, v45
	v_lshrrev_b32_e32 v117, 23, v4
	s_mov_b32 s8, exec_lo
	s_delay_alu instid0(VALU_DEP_2) | instskip(NEXT) | instid1(VALU_DEP_1)
	v_cndmask_b32_e64 v5, v5, 0xffffff82, vcc_lo
	v_add3_u32 v117, v47, v5, v117
	v_and_b32_e32 v5, 0xfffff, v116
                                        ; implicit-def: $vgpr116
	s_delay_alu instid0(VALU_DEP_1) | instskip(SKIP_1) | instid1(VALU_DEP_2)
	v_dual_add_nc_u32 v45, 6, v117 :: v_dual_add_nc_u32 v4, v5, v4
	v_mov_b32_e32 v5, v65
	v_cmpx_ne_u32_e32 0, v45
	s_xor_b32 s8, exec_lo, s8
; %bb.238:                              ;   in Loop: Header=BB2_80 Depth=2
	s_delay_alu instid0(VALU_DEP_2) | instskip(SKIP_2) | instid1(VALU_DEP_2)
	v_cmp_lt_u64_e32 vcc_lo, 0xffffff, v[4:5]
	v_add_nc_u32_e32 v116, 7, v117
	v_cndmask_b32_e64 v117, 0, 1, vcc_lo
	v_cndmask_b32_e32 v116, v45, v116, vcc_lo
	s_delay_alu instid0(VALU_DEP_2)
	v_lshrrev_b64 v[4:5], v117, v[4:5]
; %bb.239:                              ;   in Loop: Header=BB2_80 Depth=2
	s_and_not1_saveexec_b32 s8, s8
; %bb.240:                              ;   in Loop: Header=BB2_80 Depth=2
	s_delay_alu instid0(VALU_DEP_1)
	v_bfe_u32 v116, v4, 23, 1
; %bb.241:                              ;   in Loop: Header=BB2_80 Depth=2
	s_or_b32 exec_lo, exec_lo, s8
	s_delay_alu instid0(VALU_DEP_2) | instskip(NEXT) | instid1(VALU_DEP_2)
	v_lshrrev_b64 v[4:5], 20, v[4:5]
	v_cmp_gt_i32_e32 vcc_lo, 16, v116
	v_min_i32_e32 v117, 15, v116
	v_cmp_eq_u32_e64 s8, 0, v116
	s_delay_alu instid0(VALU_DEP_4) | instskip(NEXT) | instid1(VALU_DEP_3)
	v_cndmask_b32_e32 v5, 0, v5, vcc_lo
	v_dual_cndmask_b32 v4, 7, v4 :: v_dual_lshlrev_b32 v117, 3, v117
	s_delay_alu instid0(VALU_DEP_1) | instskip(NEXT) | instid1(VALU_DEP_2)
	v_and_b32_e32 v117, 0xf8, v117
	v_cmp_eq_u64_e32 vcc_lo, 0, v[4:5]
	s_delay_alu instid0(VALU_DEP_2)
	v_and_or_b32 v4, v4, 7, v117
	s_and_b32 s8, s8, vcc_lo
	s_delay_alu instid0(VALU_DEP_1) | instid1(SALU_CYCLE_1)
	v_cndmask_b32_e64 v4, v4, 0, s8
	s_delay_alu instid0(VALU_DEP_1)
	v_or_b32_e32 v45, v4, v46
.LBB2_242:                              ;   in Loop: Header=BB2_80 Depth=2
	s_or_b32 exec_lo, exec_lo, s20
                                        ; implicit-def: $vgpr46
.LBB2_243:                              ;   in Loop: Header=BB2_80 Depth=2
	s_and_not1_saveexec_b32 s8, s19
; %bb.244:                              ;   in Loop: Header=BB2_80 Depth=2
	v_or_b32_e32 v45, 0x7e, v46
; %bb.245:                              ;   in Loop: Header=BB2_80 Depth=2
	s_or_b32 exec_lo, exec_lo, s8
                                        ; implicit-def: $vgpr5
.LBB2_246:                              ;   in Loop: Header=BB2_80 Depth=2
	s_and_not1_saveexec_b32 s8, s18
; %bb.247:                              ;   in Loop: Header=BB2_80 Depth=2
	v_or_b32_e32 v45, 0x7f, v5
; %bb.248:                              ;   in Loop: Header=BB2_80 Depth=2
	s_or_b32 exec_lo, exec_lo, s8
	v_mov_b32_e32 v5, 0
	s_mov_b32 s8, exec_lo
	v_cmpx_lt_u32_e32 0xffffff, v64
	s_cbranch_execz .LBB2_256
; %bb.249:                              ;   in Loop: Header=BB2_80 Depth=2
	v_lshrrev_b32_e32 v4, 24, v64
	v_bfrev_b32_e32 v5, 1
	s_mov_b32 s18, exec_lo
	s_delay_alu instid0(VALU_DEP_2)
	v_cmpx_ne_u32_e32 0x80, v4
	s_cbranch_execz .LBB2_255
; %bb.250:                              ;   in Loop: Header=BB2_80 Depth=2
	v_bfe_u32 v116, v64, 24, 7
	v_mov_b32_e32 v5, 0x7f800001
	s_mov_b32 s19, exec_lo
	s_delay_alu instid0(VALU_DEP_2)
	v_cmpx_ne_u32_e32 0x7f, v116
	s_cbranch_execz .LBB2_254
; %bb.251:                              ;   in Loop: Header=BB2_80 Depth=2
	v_and_b32_e32 v64, 7, v4
	v_lshrrev_b32_e32 v5, 3, v116
	s_mov_b32 s20, exec_lo
	v_cmpx_gt_u32_e32 8, v116
; %bb.252:                              ;   in Loop: Header=BB2_80 Depth=2
	s_delay_alu instid0(VALU_DEP_3) | instskip(NEXT) | instid1(VALU_DEP_1)
	v_clz_i32_u32_e32 v5, v64
	v_min_u32_e32 v5, 32, v5
	s_delay_alu instid0(VALU_DEP_1) | instskip(NEXT) | instid1(VALU_DEP_1)
	v_subrev_nc_u32_e32 v116, 28, v5
	v_lshlrev_b64_e32 v[116:117], v116, v[64:65]
	s_delay_alu instid0(VALU_DEP_1)
	v_dual_sub_nc_u32 v5, 29, v5 :: v_dual_bitop2_b32 v64, 7, v116 bitop3:0x40
; %bb.253:                              ;   in Loop: Header=BB2_80 Depth=2
	s_or_b32 exec_lo, exec_lo, s20
	v_lshlrev_b32_e32 v4, 24, v4
	s_delay_alu instid0(VALU_DEP_2) | instskip(NEXT) | instid1(VALU_DEP_3)
	v_lshlrev_b32_e32 v64, 20, v64
	v_lshl_add_u32 v5, v5, 23, 0x3c000000
	s_delay_alu instid0(VALU_DEP_3) | instskip(NEXT) | instid1(VALU_DEP_1)
	v_and_b32_e32 v4, 0x80000000, v4
	v_or3_b32 v5, v64, v4, v5
.LBB2_254:                              ;   in Loop: Header=BB2_80 Depth=2
	s_or_b32 exec_lo, exec_lo, s19
.LBB2_255:                              ;   in Loop: Header=BB2_80 Depth=2
	s_delay_alu instid0(SALU_CYCLE_1)
	s_or_b32 exec_lo, exec_lo, s18
.LBB2_256:                              ;   in Loop: Header=BB2_80 Depth=2
	s_delay_alu instid0(SALU_CYCLE_1) | instskip(NEXT) | instid1(VALU_DEP_1)
	s_or_b32 exec_lo, exec_lo, s8
	v_mul_f32_e32 v5, v30, v5
                                        ; implicit-def: $vgpr4
	s_mov_b32 s8, exec_lo
	s_delay_alu instid0(VALU_DEP_1) | instskip(SKIP_1) | instid1(VALU_DEP_2)
	v_and_b32_e32 v64, 0x7f800000, v5
	v_lshrrev_b32_e32 v116, 24, v5
	v_cmpx_ne_u64_e32 0x7f800000, v[64:65]
	s_xor_b32 s18, exec_lo, s8
	s_cbranch_execz .LBB2_270
; %bb.257:                              ;   in Loop: Header=BB2_80 Depth=2
	v_and_b32_e32 v64, 0x7fffffff, v5
	v_and_b32_e32 v46, 0x80, v116
                                        ; implicit-def: $vgpr4
	s_mov_b32 s8, exec_lo
	s_delay_alu instid0(VALU_DEP_2)
	v_cmpx_gt_u64_e32 0x43e00001, v[64:65]
	s_xor_b32 s19, exec_lo, s8
	s_cbranch_execz .LBB2_267
; %bb.258:                              ;   in Loop: Header=BB2_80 Depth=2
	v_mov_b32_e32 v4, 0
	s_mov_b32 s20, exec_lo
	v_cmpx_ne_u32_e32 0, v5
	s_cbranch_execz .LBB2_266
; %bb.259:                              ;   in Loop: Header=BB2_80 Depth=2
	v_bfe_u32 v47, v5, 23, 8
	v_and_b32_e32 v64, 0x7fffff, v5
	s_delay_alu instid0(VALU_DEP_2) | instskip(SKIP_1) | instid1(VALU_DEP_3)
	v_sub_nc_u32_e32 v4, 0x79, v47
	v_cmp_gt_u32_e32 vcc_lo, 0x7a, v47
	v_or_b32_e32 v116, 0x800000, v64
	s_delay_alu instid0(VALU_DEP_3) | instskip(SKIP_1) | instid1(VALU_DEP_2)
	v_cndmask_b32_e32 v4, 0, v4, vcc_lo
	v_cmp_eq_u32_e32 vcc_lo, 0, v47
	v_cndmask_b32_e64 v60, v4, 0x78, vcc_lo
	s_delay_alu instid0(VALU_DEP_4) | instskip(NEXT) | instid1(VALU_DEP_2)
	v_cndmask_b32_e32 v64, v116, v64, vcc_lo
	v_dual_add_nc_u32 v4, 20, v60 :: v_dual_add_nc_u32 v117, 19, v60
	s_delay_alu instid0(VALU_DEP_1) | instskip(NEXT) | instid1(VALU_DEP_2)
	v_lshlrev_b64_e64 v[4:5], v4, -1
	v_lshlrev_b64_e64 v[116:117], v117, 1
	s_delay_alu instid0(VALU_DEP_2) | instskip(NEXT) | instid1(VALU_DEP_3)
	v_bfi_b32 v63, v5, 0, 0
	v_bfi_b32 v62, v4, 0, v64
	v_lshrrev_b64 v[4:5], v60, v[64:65]
	s_delay_alu instid0(VALU_DEP_2) | instskip(NEXT) | instid1(VALU_DEP_2)
	v_cmp_eq_u64_e64 s8, v[62:63], v[116:117]
	v_mov_b64_e32 v[116:117], v[4:5]
	s_and_saveexec_b32 s21, s8
; %bb.260:                              ;   in Loop: Header=BB2_80 Depth=2
	v_bfe_u32 v64, v4, 20, 1
	s_delay_alu instid0(VALU_DEP_1) | instskip(NEXT) | instid1(VALU_DEP_1)
	v_add_nc_u64_e32 v[116:117], v[4:5], v[64:65]
	v_add_nc_u64_e32 v[116:117], -1, v[116:117]
; %bb.261:                              ;   in Loop: Header=BB2_80 Depth=2
	s_or_b32 exec_lo, exec_lo, s21
	v_add_nc_u32_e32 v5, 0xffffff81, v47
	v_lshrrev_b32_e32 v64, 23, v4
	s_mov_b32 s8, exec_lo
	s_delay_alu instid0(VALU_DEP_2) | instskip(NEXT) | instid1(VALU_DEP_1)
	v_cndmask_b32_e64 v5, v5, 0xffffff82, vcc_lo
	v_add3_u32 v117, v60, v5, v64
	v_and_b32_e32 v5, 0xfffff, v116
                                        ; implicit-def: $vgpr116
	s_delay_alu instid0(VALU_DEP_1) | instskip(NEXT) | instid1(VALU_DEP_1)
	v_dual_add_nc_u32 v47, 6, v117 :: v_dual_add_nc_u32 v64, v5, v4
                                        ; implicit-def: $vgpr4_vgpr5
	v_cmpx_ne_u32_e32 0, v47
	s_xor_b32 s8, exec_lo, s8
; %bb.262:                              ;   in Loop: Header=BB2_80 Depth=2
	s_delay_alu instid0(VALU_DEP_2) | instskip(SKIP_1) | instid1(VALU_DEP_1)
	v_cmp_lt_u64_e32 vcc_lo, 0xffffff, v[64:65]
	v_add_nc_u32_e32 v4, 7, v117
	v_cndmask_b32_e32 v116, v47, v4, vcc_lo
	v_cndmask_b32_e64 v4, 0, 1, vcc_lo
	s_delay_alu instid0(VALU_DEP_1)
	v_lshrrev_b64 v[4:5], v4, v[64:65]
; %bb.263:                              ;   in Loop: Header=BB2_80 Depth=2
	s_and_not1_saveexec_b32 s8, s8
; %bb.264:                              ;   in Loop: Header=BB2_80 Depth=2
	v_mov_b64_e32 v[4:5], v[64:65]
	v_bfe_u32 v116, v64, 23, 1
; %bb.265:                              ;   in Loop: Header=BB2_80 Depth=2
	s_or_b32 exec_lo, exec_lo, s8
	s_delay_alu instid0(VALU_DEP_2) | instskip(NEXT) | instid1(VALU_DEP_2)
	v_lshrrev_b64 v[4:5], 20, v[4:5]
	v_cmp_gt_i32_e32 vcc_lo, 16, v116
	v_min_i32_e32 v64, 15, v116
	v_cmp_eq_u32_e64 s8, 0, v116
	s_delay_alu instid0(VALU_DEP_2) | instskip(SKIP_1) | instid1(VALU_DEP_2)
	v_dual_cndmask_b32 v5, 0, v5 :: v_dual_lshlrev_b32 v64, 3, v64
	v_cndmask_b32_e32 v4, 7, v4, vcc_lo
	v_and_b32_e32 v64, 0xf8, v64
	s_delay_alu instid0(VALU_DEP_2) | instskip(NEXT) | instid1(VALU_DEP_2)
	v_cmp_eq_u64_e32 vcc_lo, 0, v[4:5]
	v_and_or_b32 v4, v4, 7, v64
	s_and_b32 s8, s8, vcc_lo
	s_delay_alu instid0(VALU_DEP_1) | instid1(SALU_CYCLE_1)
	v_cndmask_b32_e64 v4, v4, 0, s8
	s_delay_alu instid0(VALU_DEP_1)
	v_or_b32_e32 v4, v4, v46
.LBB2_266:                              ;   in Loop: Header=BB2_80 Depth=2
	s_or_b32 exec_lo, exec_lo, s20
                                        ; implicit-def: $vgpr46
.LBB2_267:                              ;   in Loop: Header=BB2_80 Depth=2
	s_and_not1_saveexec_b32 s8, s19
; %bb.268:                              ;   in Loop: Header=BB2_80 Depth=2
	v_or_b32_e32 v4, 0x7e, v46
; %bb.269:                              ;   in Loop: Header=BB2_80 Depth=2
	s_or_b32 exec_lo, exec_lo, s8
                                        ; implicit-def: $vgpr116
.LBB2_270:                              ;   in Loop: Header=BB2_80 Depth=2
	s_and_not1_saveexec_b32 s8, s18
	s_cbranch_execz .LBB2_79
; %bb.271:                              ;   in Loop: Header=BB2_80 Depth=2
	v_or_b32_e32 v4, 0x7f, v116
	s_branch .LBB2_79
.LBB2_272:                              ;   in Loop: Header=BB2_42 Depth=1
	s_or_b32 exec_lo, exec_lo, s17
.LBB2_273:                              ;   in Loop: Header=BB2_42 Depth=1
	s_delay_alu instid0(SALU_CYCLE_1) | instskip(SKIP_2) | instid1(VALU_DEP_2)
	s_or_b32 exec_lo, exec_lo, s16
	v_and_b32_e32 v64, 0x7ffffff8, v16
	v_cmp_gt_i32_e64 s8, s13, v18
	v_cmp_eq_u64_e32 vcc_lo, 0x7ffffff8, v[64:65]
	s_and_b32 s16, vcc_lo, s8
	s_delay_alu instid0(SALU_CYCLE_1)
	s_and_saveexec_b32 s8, s16
	s_cbranch_execz .LBB2_276
; %bb.274:                              ;   in Loop: Header=BB2_42 Depth=1
	v_mul_lo_u32 v4, v19, s13
	v_mov_b32_e32 v2, v65
	s_mov_b32 s16, 0
	s_delay_alu instid0(VALU_DEP_2) | instskip(NEXT) | instid1(VALU_DEP_1)
	v_dual_ashrrev_i32 v19, 31, v18 :: v_dual_ashrrev_i32 v5, 31, v4
	v_lshlrev_b64_e32 v[4:5], 4, v[4:5]
	s_delay_alu instid0(VALU_DEP_1) | instskip(NEXT) | instid1(VALU_DEP_1)
	v_lshl_add_u64 v[4:5], v[18:19], 4, v[4:5]
	v_add_nc_u64_e32 v[112:113], v[36:37], v[4:5]
.LBB2_275:                              ;   Parent Loop BB2_42 Depth=1
                                        ; =>  This Inner Loop Header: Depth=2
	v_dual_mov_b32 v4, v2 :: v_dual_mov_b32 v5, v3
	v_add_nc_u32_e32 v18, v18, v20
	global_store_b128 v[112:113], v[2:5], off
	v_cmp_le_i32_e32 vcc_lo, s13, v18
	s_wait_xcnt 0x0
	v_add_nc_u64_e32 v[112:113], v[112:113], v[102:103]
	s_or_b32 s16, vcc_lo, s16
	s_delay_alu instid0(SALU_CYCLE_1)
	s_and_not1_b32 exec_lo, exec_lo, s16
	s_cbranch_execnz .LBB2_275
.LBB2_276:                              ;   in Loop: Header=BB2_42 Depth=1
	s_or_b32 exec_lo, exec_lo, s8
	v_add_nc_u64_e32 v[112:113], v[80:81], v[24:25]
	s_wait_loadcnt_dscnt 0x0
	v_add_nc_u64_e32 v[114:115], 1, v[16:17]
	s_and_not1_b32 vcc_lo, exec_lo, s15
	s_cbranch_vccnz .LBB2_794
; %bb.277:                              ;   in Loop: Header=BB2_42 Depth=1
	s_delay_alu instid0(VALU_DEP_2)
	v_add_nc_u64_e32 v[116:117], v[96:97], v[112:113]
	v_add_nc_u16 v60, v16, 1
	s_mov_b32 s16, 2
	s_branch .LBB2_279
.LBB2_278:                              ;   in Loop: Header=BB2_279 Depth=2
	s_or_b32 exec_lo, exec_lo, s8
	v_add_nc_u64_e32 v[34:35], 1, v[34:35]
	v_add_nc_u64_e32 v[114:115], 1, v[114:115]
	v_add_nc_u16 v60, v60, 1
	s_add_co_i32 s16, s16, 1
	s_delay_alu instid0(SALU_CYCLE_1)
	s_cmp_eq_u32 s16, s10
	s_cbranch_scc1 .LBB2_794
.LBB2_279:                              ;   Parent Loop BB2_42 Depth=1
                                        ; =>  This Loop Header: Depth=2
                                        ;       Child Loop BB2_284 Depth 3
                                        ;       Child Loop BB2_303 Depth 3
                                        ;       Child Loop BB2_323 Depth 3
                                        ;         Child Loop BB2_331 Depth 4
                                        ;       Child Loop BB2_783 Depth 3
                                        ;       Child Loop BB2_320 Depth 3
	s_sub_co_i32 s8, s10, s16
	v_readfirstlane_b32 s18, v22
	v_mov_b32_e32 v2, s8
	v_readfirstlane_b32 s19, v23
	flat_load_b32 v4, v2, s[18:19] scale_offset
	s_wait_xcnt 0x0
	s_and_saveexec_b32 s17, s1
	s_cbranch_execz .LBB2_295
; %bb.280:                              ;   in Loop: Header=BB2_279 Depth=2
	v_add_nc_u64_e32 v[2:3], 1, v[14:15]
	v_add_nc_u64_e32 v[16:17], 8, v[54:55]
	s_mov_b32 s18, exec_lo
	s_delay_alu instid0(VALU_DEP_1)
	v_cmpx_lt_u64_e64 v[16:17], v[2:3]
	s_cbranch_execz .LBB2_292
; %bb.281:                              ;   in Loop: Header=BB2_279 Depth=2
	s_mov_b32 s19, 0
	s_mov_b32 s23, 0
	v_cmp_eq_u32_e32 vcc_lo, 0, v21
                                        ; implicit-def: $sgpr20
                                        ; implicit-def: $sgpr21
                                        ; implicit-def: $sgpr22
	s_branch .LBB2_284
.LBB2_282:                              ;   in Loop: Header=BB2_284 Depth=3
	s_or_b32 exec_lo, exec_lo, s28
	s_delay_alu instid0(SALU_CYCLE_1)
	s_and_not1_b32 s8, s22, exec_lo
	s_and_b32 s22, s26, exec_lo
	s_and_not1_b32 s21, s21, exec_lo
	s_and_b32 s25, s25, exec_lo
	s_or_b32 s22, s8, s22
	s_or_b32 s21, s21, s25
.LBB2_283:                              ;   in Loop: Header=BB2_284 Depth=3
	s_or_b32 exec_lo, exec_lo, s24
	s_delay_alu instid0(SALU_CYCLE_1) | instskip(NEXT) | instid1(SALU_CYCLE_1)
	s_and_b32 s8, exec_lo, s21
	s_or_b32 s19, s8, s19
	s_and_not1_b32 s8, s20, exec_lo
	s_and_b32 s20, s22, exec_lo
	s_delay_alu instid0(SALU_CYCLE_1)
	s_or_b32 s20, s8, s20
	s_and_not1_b32 exec_lo, exec_lo, s19
	s_cbranch_execz .LBB2_289
.LBB2_284:                              ;   Parent Loop BB2_42 Depth=1
                                        ;     Parent Loop BB2_279 Depth=2
                                        ; =>    This Inner Loop Header: Depth=3
	s_sleep 1
	s_wait_loadcnt_dscnt 0x0
	flat_load_b64 v[54:55], v[50:51] scope:SCOPE_DEV
	v_mov_b32_e32 v21, 1
	s_or_b32 s22, s22, exec_lo
	s_or_b32 s21, s21, exec_lo
                                        ; implicit-def: $vgpr5
	s_wait_xcnt 0x0
	s_and_saveexec_b32 s24, vcc_lo
	s_cbranch_execz .LBB2_283
; %bb.285:                              ;   in Loop: Header=BB2_284 Depth=3
	s_add_co_i32 s23, s23, 1
	s_mov_b32 s25, -1
	s_cmp_lg_u32 s23, 0x2710
	s_mov_b32 s26, -1
	s_cselect_b32 s27, -1, 0
	s_cmp_eq_u32 s23, 0x2710
                                        ; implicit-def: $vgpr5
	s_cbranch_scc1 .LBB2_287
; %bb.286:                              ;   in Loop: Header=BB2_284 Depth=3
	v_mov_b32_e32 v21, 1
	s_and_saveexec_b32 s28, s27
	s_cbranch_execz .LBB2_282
	s_branch .LBB2_288
.LBB2_287:                              ;   in Loop: Header=BB2_284 Depth=3
	s_trap 2
	ds_load_b64 v[16:17], v0
	s_and_not1_b32 s23, s27, exec_lo
	s_mov_b32 s26, 0
	s_wait_storecnt 0x0
	s_wait_loadcnt_dscnt 0x0
	flat_load_b32 v5, v[16:17] scope:SCOPE_SYS
	s_wait_loadcnt_dscnt 0x0
	global_inv scope:SCOPE_SYS
	v_cmp_eq_u32_e64 s8, 0, v5
	s_and_b32 s8, s8, exec_lo
	s_delay_alu instid0(SALU_CYCLE_1)
	s_or_b32 s27, s23, s8
	s_mov_b32 s23, 0
	v_mov_b32_e32 v21, 1
	s_and_saveexec_b32 s28, s27
	s_cbranch_execz .LBB2_282
.LBB2_288:                              ;   in Loop: Header=BB2_284 Depth=3
	s_wait_loadcnt_dscnt 0x0
	v_add_nc_u64_e32 v[16:17], 8, v[54:55]
	v_mov_b32_e32 v21, 0
	s_or_b32 s26, s26, exec_lo
	s_delay_alu instid0(VALU_DEP_2)
	v_cmp_ge_u64_e64 s8, v[16:17], v[2:3]
	s_or_not1_b32 s25, s8, exec_lo
	s_branch .LBB2_282
.LBB2_289:                              ;   in Loop: Header=BB2_279 Depth=2
	s_or_b32 exec_lo, exec_lo, s19
	s_xor_b32 s8, s20, -1
	s_delay_alu instid0(SALU_CYCLE_1) | instskip(NEXT) | instid1(SALU_CYCLE_1)
	s_and_saveexec_b32 s19, s8
	s_xor_b32 s8, exec_lo, s19
	s_cbranch_execz .LBB2_291
; %bb.290:                              ;   in Loop: Header=BB2_279 Depth=2
	v_mov_b32_e32 v21, 1
	s_wait_storecnt 0x0
	s_wait_loadcnt_dscnt 0x0
	ds_store_b32 v0, v5
	s_trap 2
.LBB2_291:                              ;   in Loop: Header=BB2_279 Depth=2
	s_or_b32 exec_lo, exec_lo, s8
.LBB2_292:                              ;   in Loop: Header=BB2_279 Depth=2
	s_delay_alu instid0(SALU_CYCLE_1)
	s_or_b32 exec_lo, exec_lo, s18
	s_and_saveexec_b32 s8, s2
	s_cbranch_execz .LBB2_294
; %bb.293:                              ;   in Loop: Header=BB2_279 Depth=2
	v_and_b32_e32 v64, 0x7ffffff8, v14
	s_delay_alu instid0(VALU_DEP_1) | instskip(SKIP_1) | instid1(VALU_DEP_1)
	v_cmp_eq_u64_e32 vcc_lo, 0x7ffffff8, v[64:65]
	v_cndmask_b32_e64 v16, v59, s11, vcc_lo
	v_dual_ashrrev_i32 v17, 31, v16 :: v_dual_bitop2_b32 v5, 7, v14 bitop3:0x40
	s_delay_alu instid0(VALU_DEP_1)
	v_mad_nc_u64_u32 v[14:15], v5, 24, v[12:13]
	flat_store_b64 v[14:15], v[16:17] offset:8 scope:SCOPE_SYS
	s_wait_storecnt 0x0
.LBB2_294:                              ;   in Loop: Header=BB2_279 Depth=2
	s_wait_xcnt 0x0
	s_or_b32 exec_lo, exec_lo, s8
	v_mov_b64_e32 v[14:15], v[2:3]
.LBB2_295:                              ;   in Loop: Header=BB2_279 Depth=2
	s_or_b32 exec_lo, exec_lo, s17
	s_and_saveexec_b32 s8, s3
	s_cbranch_execz .LBB2_314
; %bb.296:                              ;   in Loop: Header=BB2_279 Depth=2
	s_and_saveexec_b32 s17, s4
	s_delay_alu instid0(SALU_CYCLE_1)
	s_xor_b32 s17, exec_lo, s17
	s_cbranch_execz .LBB2_311
; %bb.297:                              ;   in Loop: Header=BB2_279 Depth=2
	s_and_saveexec_b32 s18, s5
	s_cbranch_execz .LBB2_310
; %bb.298:                              ;   in Loop: Header=BB2_279 Depth=2
	s_mov_b32 s20, exec_lo
	s_mov_b32 s19, exec_lo
	v_mbcnt_lo_u32_b32 v2, s20, 0
	global_wb scope:SCOPE_DEV
	s_wait_storecnt 0x0
	s_wait_loadcnt_dscnt 0x0
	global_inv scope:SCOPE_DEV
	v_cmpx_eq_u32_e32 0, v2
	s_cbranch_execz .LBB2_300
; %bb.299:                              ;   in Loop: Header=BB2_279 Depth=2
	s_bcnt1_i32_b32 s20, s20
	s_delay_alu instid0(SALU_CYCLE_1)
	v_mov_b32_e32 v64, s20
	s_wait_loadcnt 0x0
	ds_add_u64 v0, v[64:65]
	s_trap 2
.LBB2_300:                              ;   in Loop: Header=BB2_279 Depth=2
	s_or_b32 exec_lo, exec_lo, s19
	s_trap 2
	ds_load_b64 v[2:3], v0
	s_wait_dscnt 0x0
	v_add_nc_u64_e32 v[52:53], v[52:53], v[82:83]
	s_mov_b32 s19, exec_lo
	s_delay_alu instid0(VALU_DEP_1)
	v_cmpx_lt_u64_e64 v[2:3], v[52:53]
	s_cbranch_execz .LBB2_309
; %bb.301:                              ;   in Loop: Header=BB2_279 Depth=2
	s_mov_b32 s20, 0
	s_mov_b32 s23, 0
                                        ; implicit-def: $sgpr21
                                        ; implicit-def: $sgpr22
	s_branch .LBB2_303
.LBB2_302:                              ;   in Loop: Header=BB2_303 Depth=3
	s_or_b32 exec_lo, exec_lo, s25
	s_delay_alu instid0(SALU_CYCLE_1) | instskip(NEXT) | instid1(SALU_CYCLE_1)
	s_and_b32 s24, exec_lo, s26
	s_or_b32 s20, s24, s20
	s_and_not1_b32 s21, s21, exec_lo
	s_and_b32 s24, s22, exec_lo
	s_delay_alu instid0(SALU_CYCLE_1)
	s_or_b32 s21, s21, s24
	s_and_not1_b32 exec_lo, exec_lo, s20
	s_cbranch_execz .LBB2_307
.LBB2_303:                              ;   Parent Loop BB2_42 Depth=1
                                        ;     Parent Loop BB2_279 Depth=2
                                        ; =>    This Inner Loop Header: Depth=3
	s_add_co_i32 s23, s23, 1
	s_delay_alu instid0(SALU_CYCLE_1) | instskip(SKIP_1) | instid1(SALU_CYCLE_1)
	s_cmp_lg_u32 s23, 0x2710
	s_cselect_b32 s24, -1, 0
	s_and_b32 vcc_lo, exec_lo, s24
	s_cbranch_vccz .LBB2_305
; %bb.304:                              ;   in Loop: Header=BB2_303 Depth=3
	s_mov_b32 s26, -1
	s_or_b32 s22, s22, exec_lo
	s_and_saveexec_b32 s25, s24
	s_cbranch_execz .LBB2_302
	s_branch .LBB2_306
.LBB2_305:                              ;   in Loop: Header=BB2_303 Depth=3
	s_trap 2
	ds_load_b64 v[2:3], v0
	s_and_not1_b32 s24, s24, exec_lo
	s_mov_b32 s23, 0
	s_wait_loadcnt_dscnt 0x0
	flat_load_b32 v2, v[2:3] scope:SCOPE_SYS
	s_wait_loadcnt_dscnt 0x0
	global_inv scope:SCOPE_SYS
	v_cmp_eq_u32_e32 vcc_lo, 0, v2
	s_and_b32 s25, vcc_lo, exec_lo
	s_delay_alu instid0(SALU_CYCLE_1)
	s_or_b32 s24, s24, s25
	s_mov_b32 s26, -1
	s_or_b32 s22, s22, exec_lo
	s_and_saveexec_b32 s25, s24
	s_cbranch_execz .LBB2_302
.LBB2_306:                              ;   in Loop: Header=BB2_303 Depth=3
	s_sleep 1
	s_trap 2
	ds_load_b64 v[2:3], v0
	s_wait_dscnt 0x0
	s_and_not1_b32 s22, s22, exec_lo
	v_cmp_ge_u64_e32 vcc_lo, v[2:3], v[52:53]
	s_or_not1_b32 s26, vcc_lo, exec_lo
	s_branch .LBB2_302
.LBB2_307:                              ;   in Loop: Header=BB2_279 Depth=2
	s_or_b32 exec_lo, exec_lo, s20
	s_and_saveexec_b32 s20, s21
	s_delay_alu instid0(SALU_CYCLE_1)
	s_xor_b32 s20, exec_lo, s20
	s_cbranch_execz .LBB2_309
; %bb.308:                              ;   in Loop: Header=BB2_279 Depth=2
	ds_store_b32 v0, v1
	s_trap 2
.LBB2_309:                              ;   in Loop: Header=BB2_279 Depth=2
	s_or_b32 exec_lo, exec_lo, s19
	;;#ASMSTART
	s_wakeup
	;;#ASMEND
.LBB2_310:                              ;   in Loop: Header=BB2_279 Depth=2
	s_or_b32 exec_lo, exec_lo, s18
.LBB2_311:                              ;   in Loop: Header=BB2_279 Depth=2
	s_and_not1_saveexec_b32 s17, s17
	s_cbranch_execz .LBB2_313
; %bb.312:                              ;   in Loop: Header=BB2_279 Depth=2
	global_wb scope:SCOPE_DEV
	s_wait_storecnt 0x0
	s_wait_loadcnt_dscnt 0x0
	global_inv scope:SCOPE_DEV
	s_barrier_signal -1
	s_barrier_wait -1
.LBB2_313:                              ;   in Loop: Header=BB2_279 Depth=2
	s_or_b32 exec_lo, exec_lo, s17
.LBB2_314:                              ;   in Loop: Header=BB2_279 Depth=2
	s_delay_alu instid0(SALU_CYCLE_1)
	s_or_b32 exec_lo, exec_lo, s8
	v_dual_mov_b32 v64, v0 :: v_dual_add_nc_u32 v3, 1, v114
	s_and_saveexec_b32 s17, s7
	s_cbranch_execnz .LBB2_321
; %bb.315:                              ;   in Loop: Header=BB2_279 Depth=2
	s_or_b32 exec_lo, exec_lo, s17
	s_and_saveexec_b32 s8, s3
	s_cbranch_execnz .LBB2_776
.LBB2_316:                              ;   in Loop: Header=BB2_279 Depth=2
	s_or_b32 exec_lo, exec_lo, s8
	s_and_saveexec_b32 s8, s6
	s_cbranch_execz .LBB2_318
.LBB2_317:                              ;   in Loop: Header=BB2_279 Depth=2
	v_add_nc_u64_e32 v[38:39], 1, v[38:39]
	global_wb scope:SCOPE_SYS
	s_wait_storecnt 0x0
	s_wait_loadcnt_dscnt 0x0
	flat_store_b64 v[48:49], v[38:39] scope:SCOPE_SYS
.LBB2_318:                              ;   in Loop: Header=BB2_279 Depth=2
	s_wait_xcnt 0x0
	s_or_b32 exec_lo, exec_lo, s8
	s_wait_loadcnt_dscnt 0x0
	v_and_b32_e32 v4, 0x7ffffff8, v114
	v_mov_b32_e32 v5, v65
	v_cmp_gt_i32_e64 s8, s13, v64
	s_delay_alu instid0(VALU_DEP_2) | instskip(SKIP_1) | instid1(SALU_CYCLE_1)
	v_cmp_eq_u64_e32 vcc_lo, 0x7ffffff8, v[4:5]
	s_and_b32 s17, vcc_lo, s8
	s_and_saveexec_b32 s8, s17
	s_cbranch_execz .LBB2_278
; %bb.319:                              ;   in Loop: Header=BB2_279 Depth=2
	v_dual_mov_b32 v16, v64 :: v_dual_bitop2_b32 v2, 7, v60 bitop3:0x40
	v_ashrrev_i32_e32 v17, 31, v64
	s_mov_b32 s17, 0
	s_delay_alu instid0(VALU_DEP_2) | instskip(NEXT) | instid1(VALU_DEP_1)
	v_mul_lo_u32 v4, s13, v2
	v_dual_mov_b32 v2, v65 :: v_dual_ashrrev_i32 v5, 31, v4
	s_delay_alu instid0(VALU_DEP_1) | instskip(NEXT) | instid1(VALU_DEP_1)
	v_lshlrev_b64_e32 v[4:5], 4, v[4:5]
	v_lshl_add_u64 v[4:5], v[16:17], 4, v[4:5]
	s_delay_alu instid0(VALU_DEP_1)
	v_add_nc_u64_e32 v[16:17], v[36:37], v[4:5]
.LBB2_320:                              ;   Parent Loop BB2_42 Depth=1
                                        ;     Parent Loop BB2_279 Depth=2
                                        ; =>    This Inner Loop Header: Depth=3
	s_delay_alu instid0(VALU_DEP_4) | instskip(SKIP_1) | instid1(VALU_DEP_2)
	v_dual_mov_b32 v4, v2 :: v_dual_add_nc_u32 v64, v64, v20
	v_mov_b32_e32 v5, v3
	v_cmp_le_i32_e32 vcc_lo, s13, v64
	global_store_b128 v[16:17], v[2:5], off
	s_wait_xcnt 0x0
	v_add_nc_u64_e32 v[16:17], v[16:17], v[102:103]
	s_or_b32 s17, vcc_lo, s17
	s_delay_alu instid0(SALU_CYCLE_1)
	s_and_not1_b32 exec_lo, exec_lo, s17
	s_cbranch_execnz .LBB2_320
	s_branch .LBB2_278
.LBB2_321:                              ;   in Loop: Header=BB2_279 Depth=2
	v_and_b32_e32 v2, 7, v34
	s_wait_loadcnt_dscnt 0x0
	v_mad_nc_u64_u32 v[118:119], v68, v4, v[116:117]
	v_dual_mov_b32 v64, v0 :: v_dual_add_nc_u32 v61, 1, v34
	s_mov_b32 s18, 0
	v_mul_lo_u32 v16, v2, s13
	v_dual_mov_b32 v62, v58 :: v_dual_bitop2_b32 v5, 7, v114 bitop3:0x40
	s_delay_alu instid0(VALU_DEP_4) | instskip(SKIP_1) | instid1(VALU_DEP_4)
	v_mad_u32 v2, v69, v4, v119
	v_ashrrev_i32_e32 v4, 31, v4
	v_ashrrev_i32_e32 v17, 31, v16
	s_delay_alu instid0(VALU_DEP_4) | instskip(NEXT) | instid1(VALU_DEP_2)
	v_mul_lo_u32 v18, v5, s13
	v_lshl_add_u64 v[40:41], v[16:17], 4, v[32:33]
	s_delay_alu instid0(VALU_DEP_4) | instskip(NEXT) | instid1(VALU_DEP_3)
	v_mad_u32 v119, v68, v4, v2
	v_ashrrev_i32_e32 v19, 31, v18
	s_delay_alu instid0(VALU_DEP_1)
	v_lshl_add_u64 v[42:43], v[18:19], 4, v[36:37]
	s_branch .LBB2_323
.LBB2_322:                              ;   in Loop: Header=BB2_323 Depth=3
	s_or_b32 exec_lo, exec_lo, s8
	v_dual_lshlrev_b32 v5, 8, v72 :: v_dual_lshlrev_b32 v16, 16, v46
	v_dual_lshlrev_b32 v17, 8, v63 :: v_dual_lshlrev_b32 v18, 16, v44
	;; [unrolled: 1-line block ×3, first 2 shown]
	s_delay_alu instid0(VALU_DEP_3) | instskip(SKIP_1) | instid1(VALU_DEP_4)
	v_or3_b32 v2, v5, v2, v16
	v_sub_nc_u32_e32 v62, v62, v86
	v_or3_b32 v5, v17, v19, v18
	v_add_nc_u64_e32 v[118:119], v[118:119], v[86:87]
	v_lshl_add_u64 v[16:17], v[64:65], 4, v[42:43]
	v_or3_b32 v2, v2, v44, 0
	v_add_nc_u32_e32 v64, v64, v20
	v_or3_b32 v4, v5, v4, 0
	v_mov_b32_e32 v5, v3
	v_cmp_gt_i32_e32 vcc_lo, 1, v62
	global_store_b128 v[16:17], v[2:5], off
	s_or_b32 s18, vcc_lo, s18
	s_wait_xcnt 0x0
	s_and_not1_b32 exec_lo, exec_lo, s18
	s_cbranch_execz .LBB2_775
.LBB2_323:                              ;   Parent Loop BB2_42 Depth=1
                                        ;     Parent Loop BB2_279 Depth=2
                                        ; =>    This Loop Header: Depth=3
                                        ;         Child Loop BB2_331 Depth 4
	s_delay_alu instid0(VALU_DEP_3)
	v_dual_mov_b32 v5, v119 :: v_dual_bitop2_b32 v4, -4, v118 bitop3:0x40
	v_min_u32_e32 v16, 8, v62
	v_dual_mov_b32 v63, 0 :: v_dual_bitop2_b32 v17, 3, v118 bitop3:0x40
	v_mov_b32_e32 v73, 0
	global_load_b32 v2, v[4:5], off th:TH_LOAD_NT
	s_mov_b32 s8, exec_lo
	v_add_nc_u32_e32 v16, v17, v16
	s_wait_xcnt 0x0
	s_delay_alu instid0(VALU_DEP_1)
	v_cmpx_lt_u32_e32 4, v16
	s_cbranch_execz .LBB2_325
; %bb.324:                              ;   in Loop: Header=BB2_323 Depth=3
	global_load_b32 v73, v[4:5], off offset:4 th:TH_LOAD_NT
.LBB2_325:                              ;   in Loop: Header=BB2_323 Depth=3
	s_wait_xcnt 0x0
	s_or_b32 exec_lo, exec_lo, s8
	v_mov_b32_e32 v17, v65
	s_mov_b32 s8, exec_lo
	s_delay_alu instid0(VALU_DEP_1)
	v_cmpx_lt_u64_e32 8, v[16:17]
	s_cbranch_execz .LBB2_327
; %bb.326:                              ;   in Loop: Header=BB2_323 Depth=3
	global_load_b32 v63, v[4:5], off offset:8 th:TH_LOAD_NT
.LBB2_327:                              ;   in Loop: Header=BB2_323 Depth=3
	s_wait_xcnt 0x0
	s_or_b32 exec_lo, exec_lo, s8
	v_lshl_add_u64 v[4:5], v[64:65], 4, v[40:41]
	v_cmp_eq_u32_e32 vcc_lo, 0, v21
	v_mov_b32_e32 v21, 1
	global_load_b128 v[16:19], v[4:5], off th:TH_LOAD_NT
	s_wait_xcnt 0x0
	s_and_saveexec_b32 s19, vcc_lo
	s_cbranch_execz .LBB2_339
; %bb.328:                              ;   in Loop: Header=BB2_323 Depth=3
	s_wait_loadcnt 0x0
	v_cmp_ne_u32_e32 vcc_lo, v61, v17
	v_cmp_ne_u32_e64 s8, v61, v19
	v_mov_b32_e32 v21, 0
	s_or_b32 s8, vcc_lo, s8
	s_delay_alu instid0(SALU_CYCLE_1)
	s_and_saveexec_b32 s20, s8
	s_cbranch_execz .LBB2_338
; %bb.329:                              ;   in Loop: Header=BB2_323 Depth=3
	s_mov_b32 s24, 1
	s_mov_b32 s22, 0
                                        ; implicit-def: $sgpr21
                                        ; implicit-def: $sgpr23
	s_branch .LBB2_331
.LBB2_330:                              ;   in Loop: Header=BB2_331 Depth=4
	s_or_b32 exec_lo, exec_lo, s26
	s_delay_alu instid0(SALU_CYCLE_1) | instskip(NEXT) | instid1(SALU_CYCLE_1)
	s_and_b32 s8, exec_lo, s8
	s_or_b32 s22, s8, s22
	s_and_not1_b32 s8, s21, exec_lo
	s_and_b32 s21, s23, exec_lo
	s_delay_alu instid0(SALU_CYCLE_1)
	s_or_b32 s21, s8, s21
	s_and_not1_b32 exec_lo, exec_lo, s22
	s_cbranch_execz .LBB2_335
.LBB2_331:                              ;   Parent Loop BB2_42 Depth=1
                                        ;     Parent Loop BB2_279 Depth=2
                                        ;       Parent Loop BB2_323 Depth=3
                                        ; =>      This Inner Loop Header: Depth=4
	s_wait_loadcnt 0x0
	global_load_b128 v[16:19], v[4:5], off th:TH_LOAD_NT
	s_add_co_i32 s24, s24, 1
	s_mov_b32 s8, -1
	s_cmp_lg_u32 s24, 0x2710
	s_mov_b32 s25, -1
                                        ; implicit-def: $vgpr44
	s_cbranch_scc0 .LBB2_333
; %bb.332:                              ;   in Loop: Header=BB2_331 Depth=4
	s_or_b32 s23, s23, exec_lo
	s_wait_xcnt 0x0
	s_and_saveexec_b32 s26, s25
	s_cbranch_execz .LBB2_330
	s_branch .LBB2_334
.LBB2_333:                              ;   in Loop: Header=BB2_331 Depth=4
	s_trap 2
	ds_load_b64 v[44:45], v0
	s_mov_b32 s24, 0
	s_wait_storecnt 0x0
	s_wait_loadcnt_dscnt 0x0
	flat_load_b32 v44, v[44:45] scope:SCOPE_SYS
	s_wait_loadcnt_dscnt 0x0
	global_inv scope:SCOPE_SYS
	v_cmp_eq_u32_e32 vcc_lo, 0, v44
	s_or_not1_b32 s25, vcc_lo, exec_lo
	s_or_b32 s23, s23, exec_lo
	s_wait_xcnt 0x0
	s_and_saveexec_b32 s26, s25
	s_cbranch_execz .LBB2_330
.LBB2_334:                              ;   in Loop: Header=BB2_331 Depth=4
	s_wait_loadcnt 0x0
	v_cmp_eq_u32_e32 vcc_lo, v61, v17
	v_cmp_eq_u32_e64 s8, v61, v19
	s_and_not1_b32 s23, s23, exec_lo
	s_and_b32 s8, vcc_lo, s8
	s_delay_alu instid0(SALU_CYCLE_1)
	s_or_not1_b32 s8, s8, exec_lo
	s_branch .LBB2_330
.LBB2_335:                              ;   in Loop: Header=BB2_323 Depth=3
	s_or_b32 exec_lo, exec_lo, s22
	v_mov_b32_e32 v21, 0
	s_and_saveexec_b32 s8, s21
	s_delay_alu instid0(SALU_CYCLE_1)
	s_xor_b32 s8, exec_lo, s8
	s_cbranch_execz .LBB2_337
; %bb.336:                              ;   in Loop: Header=BB2_323 Depth=3
	v_mov_b32_e32 v21, 1
	s_wait_loadcnt 0x0
	s_wait_storecnt 0x0
	ds_store_b32 v0, v44
	s_trap 2
.LBB2_337:                              ;   in Loop: Header=BB2_323 Depth=3
	s_or_b32 exec_lo, exec_lo, s8
.LBB2_338:                              ;   in Loop: Header=BB2_323 Depth=3
	s_delay_alu instid0(SALU_CYCLE_1)
	s_or_b32 exec_lo, exec_lo, s20
.LBB2_339:                              ;   in Loop: Header=BB2_323 Depth=3
	s_delay_alu instid0(SALU_CYCLE_1) | instskip(SKIP_3) | instid1(VALU_DEP_1)
	s_or_b32 exec_lo, exec_lo, s19
	v_dual_mov_b32 v5, v65 :: v_dual_lshlrev_b32 v74, 3, v118
	s_mov_b32 s8, exec_lo
	s_wait_loadcnt 0x1
	v_alignbit_b32 v4, v73, v2, v74
	v_mov_b32_e32 v2, 0
	s_delay_alu instid0(VALU_DEP_2) | instskip(NEXT) | instid1(VALU_DEP_1)
	v_and_b32_e32 v44, 0xff, v4
	v_cmpx_ne_u16_e32 0, v44
	s_cbranch_execz .LBB2_345
; %bb.340:                              ;   in Loop: Header=BB2_323 Depth=3
	v_bfrev_b32_e32 v2, 1
	s_mov_b32 s19, exec_lo
	v_cmpx_ne_u16_e32 0x80, v44
	s_cbranch_execz .LBB2_344
; %bb.341:                              ;   in Loop: Header=BB2_323 Depth=3
	v_and_b32_e32 v44, 0x7f, v4
	v_mov_b32_e32 v2, 0x7f800001
	s_mov_b32 s20, exec_lo
	s_delay_alu instid0(VALU_DEP_2)
	v_cmpx_ne_u32_e32 0x7f, v44
	s_cbranch_execz .LBB2_343
; %bb.342:                              ;   in Loop: Header=BB2_323 Depth=3
	v_cmp_gt_u32_e32 vcc_lo, 8, v44
	v_and_b32_e32 v2, 7, v4
	s_delay_alu instid0(VALU_DEP_1) | instskip(NEXT) | instid1(VALU_DEP_1)
	v_clz_i32_u32_e32 v2, v2
	v_min_u32_e32 v2, 32, v2
	v_lshrrev_b32_e32 v45, 3, v44
	s_delay_alu instid0(VALU_DEP_2) | instskip(SKIP_1) | instid1(VALU_DEP_2)
	v_subrev_nc_u32_e32 v46, 28, v2
	v_sub_nc_u32_e32 v2, 29, v2
	v_cndmask_b32_e32 v44, 0, v46, vcc_lo
	s_delay_alu instid0(VALU_DEP_2) | instskip(NEXT) | instid1(VALU_DEP_2)
	v_cndmask_b32_e32 v2, v45, v2, vcc_lo
	v_lshlrev_b64_e32 v[44:45], v44, v[4:5]
	v_lshlrev_b32_e32 v5, 24, v4
	s_delay_alu instid0(VALU_DEP_3) | instskip(NEXT) | instid1(VALU_DEP_2)
	v_lshl_add_u32 v2, v2, 23, 0x3c000000
	v_and_b32_e32 v5, 0x80000000, v5
	s_delay_alu instid0(VALU_DEP_4) | instskip(NEXT) | instid1(VALU_DEP_1)
	v_lshlrev_b32_e32 v44, 20, v44
	v_and_b32_e32 v44, 0x700000, v44
	s_delay_alu instid0(VALU_DEP_1)
	v_or3_b32 v2, v44, v5, v2
.LBB2_343:                              ;   in Loop: Header=BB2_323 Depth=3
	s_or_b32 exec_lo, exec_lo, s20
.LBB2_344:                              ;   in Loop: Header=BB2_323 Depth=3
	s_delay_alu instid0(SALU_CYCLE_1)
	s_or_b32 exec_lo, exec_lo, s19
.LBB2_345:                              ;   in Loop: Header=BB2_323 Depth=3
	s_delay_alu instid0(SALU_CYCLE_1) | instskip(NEXT) | instid1(VALU_DEP_1)
	s_or_b32 exec_lo, exec_lo, s8
	v_dual_mul_f32 v44, v30, v2 :: v_dual_mov_b32 v47, v65
                                        ; implicit-def: $vgpr2
	s_mov_b32 s8, exec_lo
	s_delay_alu instid0(VALU_DEP_1) | instskip(SKIP_1) | instid1(VALU_DEP_2)
	v_and_b32_e32 v46, 0x7f800000, v44
	v_lshrrev_b32_e32 v5, 24, v44
	v_cmpx_ne_u64_e32 0x7f800000, v[46:47]
	s_xor_b32 s19, exec_lo, s8
	s_cbranch_execz .LBB2_359
; %bb.346:                              ;   in Loop: Header=BB2_323 Depth=3
	v_and_b32_e32 v46, 0x7fffffff, v44
	v_mov_b32_e32 v47, v65
	v_and_b32_e32 v5, 0x80, v5
                                        ; implicit-def: $vgpr2
	s_mov_b32 s8, exec_lo
	s_delay_alu instid0(VALU_DEP_2)
	v_cmpx_gt_u64_e32 0x43e00001, v[46:47]
	s_xor_b32 s20, exec_lo, s8
	s_cbranch_execz .LBB2_356
; %bb.347:                              ;   in Loop: Header=BB2_323 Depth=3
	v_mov_b32_e32 v2, 0
	s_mov_b32 s21, exec_lo
	v_cmpx_ne_u32_e32 0, v44
	s_cbranch_execz .LBB2_355
; %bb.348:                              ;   in Loop: Header=BB2_323 Depth=3
	v_bfe_u32 v2, v44, 23, 8
	v_and_b32_e32 v46, 0x7fffff, v44
	s_mov_b32 s22, exec_lo
	s_delay_alu instid0(VALU_DEP_2) | instskip(SKIP_1) | instid1(VALU_DEP_3)
	v_sub_nc_u32_e32 v45, 0x79, v2
	v_cmp_gt_u32_e32 vcc_lo, 0x7a, v2
	v_or_b32_e32 v47, 0x800000, v46
	s_delay_alu instid0(VALU_DEP_3) | instskip(SKIP_1) | instid1(VALU_DEP_2)
	v_cndmask_b32_e32 v45, 0, v45, vcc_lo
	v_cmp_eq_u32_e32 vcc_lo, 0, v2
	v_cndmask_b32_e64 v72, v45, 0x78, vcc_lo
	s_delay_alu instid0(VALU_DEP_4) | instskip(NEXT) | instid1(VALU_DEP_2)
	v_dual_cndmask_b32 v46, v47, v46 :: v_dual_mov_b32 v47, v65
	v_dual_add_nc_u32 v44, 20, v72 :: v_dual_add_nc_u32 v75, 19, v72
	s_delay_alu instid0(VALU_DEP_1) | instskip(NEXT) | instid1(VALU_DEP_2)
	v_lshlrev_b64_e64 v[44:45], v44, -1
	v_lshlrev_b64_e64 v[76:77], v75, 1
	s_delay_alu instid0(VALU_DEP_2) | instskip(NEXT) | instid1(VALU_DEP_3)
	v_bfi_b32 v79, v45, 0, 0
	v_bfi_b32 v78, v44, 0, v46
	v_lshrrev_b64 v[44:45], v72, v[46:47]
	s_delay_alu instid0(VALU_DEP_1) | instskip(NEXT) | instid1(VALU_DEP_3)
	v_mov_b64_e32 v[46:47], v[44:45]
	v_cmpx_eq_u64_e64 v[78:79], v[76:77]
; %bb.349:                              ;   in Loop: Header=BB2_323 Depth=3
	v_bfe_u32 v46, v44, 20, 1
	v_mov_b32_e32 v47, v65
	s_delay_alu instid0(VALU_DEP_1) | instskip(NEXT) | instid1(VALU_DEP_1)
	v_add_nc_u64_e32 v[46:47], v[44:45], v[46:47]
	v_add_nc_u64_e32 v[46:47], -1, v[46:47]
; %bb.350:                              ;   in Loop: Header=BB2_323 Depth=3
	s_or_b32 exec_lo, exec_lo, s22
	v_add_nc_u32_e32 v2, 0xffffff81, v2
	v_lshrrev_b32_e32 v45, 23, v44
	s_mov_b32 s8, exec_lo
	s_delay_alu instid0(VALU_DEP_2) | instskip(NEXT) | instid1(VALU_DEP_1)
	v_cndmask_b32_e64 v2, v2, 0xffffff82, vcc_lo
	v_add3_u32 v47, v72, v2, v45
	v_and_b32_e32 v2, 0xfffff, v46
	s_delay_alu instid0(VALU_DEP_2) | instskip(NEXT) | instid1(VALU_DEP_2)
	v_dual_mov_b32 v45, v65 :: v_dual_add_nc_u32 v46, 6, v47
	v_add_nc_u32_e32 v44, v2, v44
                                        ; implicit-def: $vgpr2
	s_delay_alu instid0(VALU_DEP_2)
	v_cmpx_ne_u32_e32 0, v46
	s_xor_b32 s8, exec_lo, s8
; %bb.351:                              ;   in Loop: Header=BB2_323 Depth=3
	s_delay_alu instid0(VALU_DEP_2) | instskip(SKIP_1) | instid1(VALU_DEP_1)
	v_cmp_lt_u64_e32 vcc_lo, 0xffffff, v[44:45]
	v_add_nc_u32_e32 v2, 7, v47
	v_cndmask_b32_e32 v2, v46, v2, vcc_lo
	v_cndmask_b32_e64 v46, 0, 1, vcc_lo
	s_delay_alu instid0(VALU_DEP_1)
	v_lshrrev_b64 v[44:45], v46, v[44:45]
; %bb.352:                              ;   in Loop: Header=BB2_323 Depth=3
	s_and_not1_saveexec_b32 s8, s8
; %bb.353:                              ;   in Loop: Header=BB2_323 Depth=3
	s_delay_alu instid0(VALU_DEP_1)
	v_bfe_u32 v2, v44, 23, 1
; %bb.354:                              ;   in Loop: Header=BB2_323 Depth=3
	s_or_b32 exec_lo, exec_lo, s8
	s_delay_alu instid0(VALU_DEP_2) | instskip(NEXT) | instid1(VALU_DEP_2)
	v_lshrrev_b64 v[44:45], 20, v[44:45]
	v_cmp_gt_i32_e32 vcc_lo, 16, v2
	v_min_i32_e32 v46, 15, v2
	v_cmp_eq_u32_e64 s8, 0, v2
	s_delay_alu instid0(VALU_DEP_2) | instskip(SKIP_1) | instid1(VALU_DEP_2)
	v_dual_cndmask_b32 v45, 0, v45 :: v_dual_lshlrev_b32 v46, 3, v46
	v_cndmask_b32_e32 v44, 7, v44, vcc_lo
	v_and_b32_e32 v46, 0xf8, v46
	s_delay_alu instid0(VALU_DEP_2) | instskip(NEXT) | instid1(VALU_DEP_2)
	v_cmp_eq_u64_e32 vcc_lo, 0, v[44:45]
	v_and_or_b32 v2, v44, 7, v46
	s_and_b32 s8, s8, vcc_lo
	s_delay_alu instid0(VALU_DEP_1) | instid1(SALU_CYCLE_1)
	v_cndmask_b32_e64 v2, v2, 0, s8
	s_delay_alu instid0(VALU_DEP_1)
	v_or_b32_e32 v2, v2, v5
.LBB2_355:                              ;   in Loop: Header=BB2_323 Depth=3
	s_or_b32 exec_lo, exec_lo, s21
                                        ; implicit-def: $vgpr5
.LBB2_356:                              ;   in Loop: Header=BB2_323 Depth=3
	s_and_not1_saveexec_b32 s8, s20
; %bb.357:                              ;   in Loop: Header=BB2_323 Depth=3
	v_or_b32_e32 v2, 0x7e, v5
; %bb.358:                              ;   in Loop: Header=BB2_323 Depth=3
	s_or_b32 exec_lo, exec_lo, s8
                                        ; implicit-def: $vgpr5
.LBB2_359:                              ;   in Loop: Header=BB2_323 Depth=3
	s_and_not1_saveexec_b32 s8, s19
; %bb.360:                              ;   in Loop: Header=BB2_323 Depth=3
	v_or_b32_e32 v2, 0x7f, v5
; %bb.361:                              ;   in Loop: Header=BB2_323 Depth=3
	s_or_b32 exec_lo, exec_lo, s8
	v_lshrrev_b16 v44, 8, v4
	v_mov_b32_e32 v5, 0
	s_mov_b32 s8, exec_lo
	s_delay_alu instid0(VALU_DEP_2)
	v_cmpx_ne_u16_e32 0, v44
	s_cbranch_execz .LBB2_369
; %bb.362:                              ;   in Loop: Header=BB2_323 Depth=3
	v_bfrev_b32_e32 v5, 1
	s_mov_b32 s19, exec_lo
	v_cmpx_ne_u16_e32 0x80, v44
	s_cbranch_execz .LBB2_368
; %bb.363:                              ;   in Loop: Header=BB2_323 Depth=3
	v_and_b32_e32 v44, 0xffff, v44
	v_mov_b32_e32 v5, 0x7f800001
	s_mov_b32 s20, exec_lo
	s_delay_alu instid0(VALU_DEP_2) | instskip(NEXT) | instid1(VALU_DEP_1)
	v_and_b32_e32 v46, 0x7f, v44
	v_cmpx_ne_u32_e32 0x7f, v46
	s_cbranch_execz .LBB2_367
; %bb.364:                              ;   in Loop: Header=BB2_323 Depth=3
	v_dual_mov_b32 v45, v65 :: v_dual_bitop2_b32 v44, 7, v44 bitop3:0x40
	v_lshrrev_b32_e32 v5, 3, v46
	s_mov_b32 s21, exec_lo
	v_cmpx_gt_u32_e32 8, v46
; %bb.365:                              ;   in Loop: Header=BB2_323 Depth=3
	s_delay_alu instid0(VALU_DEP_3) | instskip(NEXT) | instid1(VALU_DEP_1)
	v_clz_i32_u32_e32 v5, v44
	v_min_u32_e32 v5, 32, v5
	s_delay_alu instid0(VALU_DEP_1) | instskip(NEXT) | instid1(VALU_DEP_1)
	v_subrev_nc_u32_e32 v46, 28, v5
	v_lshlrev_b64_e32 v[44:45], v46, v[44:45]
	s_delay_alu instid0(VALU_DEP_1)
	v_dual_sub_nc_u32 v5, 29, v5 :: v_dual_bitop2_b32 v44, 7, v44 bitop3:0x40
; %bb.366:                              ;   in Loop: Header=BB2_323 Depth=3
	s_or_b32 exec_lo, exec_lo, s21
	v_lshlrev_b32_e32 v45, 16, v4
	s_delay_alu instid0(VALU_DEP_2) | instskip(NEXT) | instid1(VALU_DEP_3)
	v_lshlrev_b32_e32 v44, 20, v44
	v_lshl_add_u32 v5, v5, 23, 0x3c000000
	s_delay_alu instid0(VALU_DEP_3) | instskip(NEXT) | instid1(VALU_DEP_1)
	v_and_b32_e32 v45, 0x80000000, v45
	v_or3_b32 v5, v44, v45, v5
.LBB2_367:                              ;   in Loop: Header=BB2_323 Depth=3
	s_or_b32 exec_lo, exec_lo, s20
.LBB2_368:                              ;   in Loop: Header=BB2_323 Depth=3
	s_delay_alu instid0(SALU_CYCLE_1)
	s_or_b32 exec_lo, exec_lo, s19
.LBB2_369:                              ;   in Loop: Header=BB2_323 Depth=3
	s_delay_alu instid0(SALU_CYCLE_1) | instskip(NEXT) | instid1(VALU_DEP_1)
	s_or_b32 exec_lo, exec_lo, s8
	v_dual_mul_f32 v44, v30, v5 :: v_dual_mov_b32 v47, v65
                                        ; implicit-def: $vgpr72
	s_mov_b32 s8, exec_lo
	s_delay_alu instid0(VALU_DEP_1) | instskip(SKIP_1) | instid1(VALU_DEP_2)
	v_and_b32_e32 v46, 0x7f800000, v44
	v_lshrrev_b32_e32 v5, 24, v44
	v_cmpx_ne_u64_e32 0x7f800000, v[46:47]
	s_xor_b32 s19, exec_lo, s8
	s_cbranch_execz .LBB2_383
; %bb.370:                              ;   in Loop: Header=BB2_323 Depth=3
	v_and_b32_e32 v46, 0x7fffffff, v44
	v_mov_b32_e32 v47, v65
	v_and_b32_e32 v5, 0x80, v5
                                        ; implicit-def: $vgpr72
	s_mov_b32 s8, exec_lo
	s_delay_alu instid0(VALU_DEP_2)
	v_cmpx_gt_u64_e32 0x43e00001, v[46:47]
	s_xor_b32 s20, exec_lo, s8
	s_cbranch_execz .LBB2_380
; %bb.371:                              ;   in Loop: Header=BB2_323 Depth=3
	v_mov_b32_e32 v72, 0
	s_mov_b32 s21, exec_lo
	v_cmpx_ne_u32_e32 0, v44
	s_cbranch_execz .LBB2_379
; %bb.372:                              ;   in Loop: Header=BB2_323 Depth=3
	v_bfe_u32 v72, v44, 23, 8
	v_and_b32_e32 v46, 0x7fffff, v44
	s_mov_b32 s22, exec_lo
	s_delay_alu instid0(VALU_DEP_2) | instskip(NEXT) | instid1(VALU_DEP_2)
	v_cmp_gt_u32_e32 vcc_lo, 0x7a, v72
	v_or_b32_e32 v47, 0x800000, v46
	v_sub_nc_u32_e32 v45, 0x79, v72
	s_delay_alu instid0(VALU_DEP_1) | instskip(SKIP_1) | instid1(VALU_DEP_2)
	v_cndmask_b32_e32 v45, 0, v45, vcc_lo
	v_cmp_eq_u32_e32 vcc_lo, 0, v72
	v_cndmask_b32_e64 v75, v45, 0x78, vcc_lo
	v_dual_cndmask_b32 v46, v47, v46 :: v_dual_mov_b32 v47, v65
	s_delay_alu instid0(VALU_DEP_2) | instskip(NEXT) | instid1(VALU_DEP_1)
	v_dual_add_nc_u32 v76, 19, v75 :: v_dual_add_nc_u32 v44, 20, v75
	v_lshlrev_b64_e64 v[76:77], v76, 1
	s_delay_alu instid0(VALU_DEP_2) | instskip(NEXT) | instid1(VALU_DEP_1)
	v_lshlrev_b64_e64 v[44:45], v44, -1
	v_bfi_b32 v79, v45, 0, 0
	s_delay_alu instid0(VALU_DEP_2) | instskip(SKIP_1) | instid1(VALU_DEP_1)
	v_bfi_b32 v78, v44, 0, v46
	v_lshrrev_b64 v[44:45], v75, v[46:47]
	v_mov_b64_e32 v[46:47], v[44:45]
	s_delay_alu instid0(VALU_DEP_3)
	v_cmpx_eq_u64_e64 v[78:79], v[76:77]
; %bb.373:                              ;   in Loop: Header=BB2_323 Depth=3
	v_bfe_u32 v46, v44, 20, 1
	v_mov_b32_e32 v47, v65
	s_delay_alu instid0(VALU_DEP_1) | instskip(NEXT) | instid1(VALU_DEP_1)
	v_add_nc_u64_e32 v[46:47], v[44:45], v[46:47]
	v_add_nc_u64_e32 v[46:47], -1, v[46:47]
; %bb.374:                              ;   in Loop: Header=BB2_323 Depth=3
	s_or_b32 exec_lo, exec_lo, s22
	v_add_nc_u32_e32 v45, 0xffffff81, v72
	v_lshrrev_b32_e32 v47, 23, v44
	s_mov_b32 s8, exec_lo
	s_delay_alu instid0(VALU_DEP_2) | instskip(NEXT) | instid1(VALU_DEP_1)
	v_cndmask_b32_e64 v45, v45, 0xffffff82, vcc_lo
	v_add3_u32 v47, v75, v45, v47
	v_and_b32_e32 v45, 0xfffff, v46
                                        ; implicit-def: $vgpr46
	s_delay_alu instid0(VALU_DEP_1) | instskip(SKIP_1) | instid1(VALU_DEP_2)
	v_dual_add_nc_u32 v72, 6, v47 :: v_dual_add_nc_u32 v44, v45, v44
	v_mov_b32_e32 v45, v65
	v_cmpx_ne_u32_e32 0, v72
	s_xor_b32 s8, exec_lo, s8
; %bb.375:                              ;   in Loop: Header=BB2_323 Depth=3
	s_delay_alu instid0(VALU_DEP_2) | instskip(SKIP_2) | instid1(VALU_DEP_2)
	v_cmp_lt_u64_e32 vcc_lo, 0xffffff, v[44:45]
	v_add_nc_u32_e32 v46, 7, v47
	v_cndmask_b32_e64 v47, 0, 1, vcc_lo
	v_cndmask_b32_e32 v46, v72, v46, vcc_lo
	s_delay_alu instid0(VALU_DEP_2)
	v_lshrrev_b64 v[44:45], v47, v[44:45]
; %bb.376:                              ;   in Loop: Header=BB2_323 Depth=3
	s_and_not1_saveexec_b32 s8, s8
; %bb.377:                              ;   in Loop: Header=BB2_323 Depth=3
	s_delay_alu instid0(VALU_DEP_1)
	v_bfe_u32 v46, v44, 23, 1
; %bb.378:                              ;   in Loop: Header=BB2_323 Depth=3
	s_or_b32 exec_lo, exec_lo, s8
	s_delay_alu instid0(VALU_DEP_2) | instskip(NEXT) | instid1(VALU_DEP_2)
	v_lshrrev_b64 v[44:45], 20, v[44:45]
	v_cmp_gt_i32_e32 vcc_lo, 16, v46
	v_min_i32_e32 v47, 15, v46
	v_cmp_eq_u32_e64 s8, 0, v46
	s_delay_alu instid0(VALU_DEP_2) | instskip(SKIP_1) | instid1(VALU_DEP_2)
	v_dual_cndmask_b32 v45, 0, v45, vcc_lo :: v_dual_lshlrev_b32 v47, 3, v47
	v_cndmask_b32_e32 v44, 7, v44, vcc_lo
	v_and_b32_e32 v47, 0xf8, v47
	s_delay_alu instid0(VALU_DEP_2) | instskip(NEXT) | instid1(VALU_DEP_2)
	v_cmp_eq_u64_e32 vcc_lo, 0, v[44:45]
	v_and_or_b32 v44, v44, 7, v47
	s_and_b32 s8, s8, vcc_lo
	s_delay_alu instid0(VALU_DEP_1) | instid1(SALU_CYCLE_1)
	v_cndmask_b32_e64 v44, v44, 0, s8
	s_delay_alu instid0(VALU_DEP_1)
	v_or_b32_e32 v72, v44, v5
.LBB2_379:                              ;   in Loop: Header=BB2_323 Depth=3
	s_or_b32 exec_lo, exec_lo, s21
                                        ; implicit-def: $vgpr5
.LBB2_380:                              ;   in Loop: Header=BB2_323 Depth=3
	s_and_not1_saveexec_b32 s8, s20
; %bb.381:                              ;   in Loop: Header=BB2_323 Depth=3
	v_or_b32_e32 v72, 0x7e, v5
; %bb.382:                              ;   in Loop: Header=BB2_323 Depth=3
	s_or_b32 exec_lo, exec_lo, s8
                                        ; implicit-def: $vgpr5
.LBB2_383:                              ;   in Loop: Header=BB2_323 Depth=3
	s_and_not1_saveexec_b32 s8, s19
; %bb.384:                              ;   in Loop: Header=BB2_323 Depth=3
	v_or_b32_e32 v72, 0x7f, v5
; %bb.385:                              ;   in Loop: Header=BB2_323 Depth=3
	s_or_b32 exec_lo, exec_lo, s8
	v_dual_mov_b32 v44, 0 :: v_dual_lshrrev_b32 v5, 16, v4
	s_mov_b32 s8, exec_lo
	s_delay_alu instid0(VALU_DEP_1) | instskip(NEXT) | instid1(VALU_DEP_1)
	v_and_b32_e32 v45, 0xff, v5
	v_cmpx_ne_u16_e32 0, v45
	s_cbranch_execz .LBB2_393
; %bb.386:                              ;   in Loop: Header=BB2_323 Depth=3
	v_bfrev_b32_e32 v44, 1
	s_mov_b32 s19, exec_lo
	v_cmpx_ne_u16_e32 0x80, v45
	s_cbranch_execz .LBB2_392
; %bb.387:                              ;   in Loop: Header=BB2_323 Depth=3
	v_bfe_u32 v47, v4, 16, 7
	v_mov_b32_e32 v44, 0x7f800001
	s_mov_b32 s20, exec_lo
	s_delay_alu instid0(VALU_DEP_2)
	v_cmpx_ne_u32_e32 0x7f, v47
	s_cbranch_execz .LBB2_391
; %bb.388:                              ;   in Loop: Header=BB2_323 Depth=3
	v_dual_mov_b32 v45, v65 :: v_dual_bitop2_b32 v44, 7, v5 bitop3:0x40
	v_lshrrev_b32_e32 v46, 3, v47
	s_mov_b32 s21, exec_lo
	v_cmpx_gt_u32_e32 8, v47
; %bb.389:                              ;   in Loop: Header=BB2_323 Depth=3
	s_delay_alu instid0(VALU_DEP_3) | instskip(NEXT) | instid1(VALU_DEP_1)
	v_clz_i32_u32_e32 v46, v44
	v_min_u32_e32 v46, 32, v46
	s_delay_alu instid0(VALU_DEP_1) | instskip(NEXT) | instid1(VALU_DEP_1)
	v_subrev_nc_u32_e32 v47, 28, v46
	v_lshlrev_b64_e32 v[44:45], v47, v[44:45]
	s_delay_alu instid0(VALU_DEP_1)
	v_dual_sub_nc_u32 v46, 29, v46 :: v_dual_bitop2_b32 v44, 7, v44 bitop3:0x40
; %bb.390:                              ;   in Loop: Header=BB2_323 Depth=3
	s_or_b32 exec_lo, exec_lo, s21
	s_delay_alu instid0(VALU_DEP_1) | instskip(NEXT) | instid1(VALU_DEP_2)
	v_dual_lshlrev_b32 v5, 24, v5 :: v_dual_lshlrev_b32 v44, 20, v44
	v_lshl_add_u32 v45, v46, 23, 0x3c000000
	s_delay_alu instid0(VALU_DEP_2) | instskip(NEXT) | instid1(VALU_DEP_1)
	v_and_b32_e32 v5, 0x80000000, v5
	v_or3_b32 v44, v44, v5, v45
.LBB2_391:                              ;   in Loop: Header=BB2_323 Depth=3
	s_or_b32 exec_lo, exec_lo, s20
.LBB2_392:                              ;   in Loop: Header=BB2_323 Depth=3
	s_delay_alu instid0(SALU_CYCLE_1)
	s_or_b32 exec_lo, exec_lo, s19
.LBB2_393:                              ;   in Loop: Header=BB2_323 Depth=3
	s_delay_alu instid0(SALU_CYCLE_1) | instskip(NEXT) | instid1(VALU_DEP_1)
	s_or_b32 exec_lo, exec_lo, s8
	v_dual_mul_f32 v44, v30, v44 :: v_dual_mov_b32 v47, v65
                                        ; implicit-def: $vgpr76
	s_mov_b32 s8, exec_lo
	s_delay_alu instid0(VALU_DEP_1) | instskip(SKIP_1) | instid1(VALU_DEP_2)
	v_and_b32_e32 v46, 0x7f800000, v44
	v_lshrrev_b32_e32 v5, 24, v44
	v_cmpx_ne_u64_e32 0x7f800000, v[46:47]
	s_xor_b32 s19, exec_lo, s8
	s_cbranch_execz .LBB2_407
; %bb.394:                              ;   in Loop: Header=BB2_323 Depth=3
	v_and_b32_e32 v46, 0x7fffffff, v44
	v_mov_b32_e32 v47, v65
	v_and_b32_e32 v5, 0x80, v5
                                        ; implicit-def: $vgpr76
	s_mov_b32 s8, exec_lo
	s_delay_alu instid0(VALU_DEP_2)
	v_cmpx_gt_u64_e32 0x43e00001, v[46:47]
	s_xor_b32 s20, exec_lo, s8
	s_cbranch_execz .LBB2_404
; %bb.395:                              ;   in Loop: Header=BB2_323 Depth=3
	v_mov_b32_e32 v76, 0
	s_mov_b32 s21, exec_lo
	v_cmpx_ne_u32_e32 0, v44
	s_cbranch_execz .LBB2_403
; %bb.396:                              ;   in Loop: Header=BB2_323 Depth=3
	v_bfe_u32 v75, v44, 23, 8
	v_and_b32_e32 v46, 0x7fffff, v44
	s_mov_b32 s22, exec_lo
	s_delay_alu instid0(VALU_DEP_2) | instskip(NEXT) | instid1(VALU_DEP_2)
	v_cmp_gt_u32_e32 vcc_lo, 0x7a, v75
	v_or_b32_e32 v47, 0x800000, v46
	v_sub_nc_u32_e32 v45, 0x79, v75
	s_delay_alu instid0(VALU_DEP_1) | instskip(SKIP_1) | instid1(VALU_DEP_2)
	v_cndmask_b32_e32 v45, 0, v45, vcc_lo
	v_cmp_eq_u32_e32 vcc_lo, 0, v75
	v_cndmask_b32_e64 v76, v45, 0x78, vcc_lo
	v_dual_cndmask_b32 v46, v47, v46 :: v_dual_mov_b32 v47, v65
	s_delay_alu instid0(VALU_DEP_2) | instskip(NEXT) | instid1(VALU_DEP_1)
	v_dual_add_nc_u32 v77, 19, v76 :: v_dual_add_nc_u32 v44, 20, v76
	v_lshlrev_b64_e64 v[78:79], v77, 1
	s_delay_alu instid0(VALU_DEP_2) | instskip(NEXT) | instid1(VALU_DEP_1)
	v_lshlrev_b64_e64 v[44:45], v44, -1
	v_bfi_b32 v89, v45, 0, 0
	s_delay_alu instid0(VALU_DEP_2) | instskip(SKIP_1) | instid1(VALU_DEP_1)
	v_bfi_b32 v88, v44, 0, v46
	v_lshrrev_b64 v[44:45], v76, v[46:47]
	v_mov_b64_e32 v[46:47], v[44:45]
	s_delay_alu instid0(VALU_DEP_3)
	v_cmpx_eq_u64_e64 v[88:89], v[78:79]
; %bb.397:                              ;   in Loop: Header=BB2_323 Depth=3
	v_bfe_u32 v46, v44, 20, 1
	v_mov_b32_e32 v47, v65
	s_delay_alu instid0(VALU_DEP_1) | instskip(NEXT) | instid1(VALU_DEP_1)
	v_add_nc_u64_e32 v[46:47], v[44:45], v[46:47]
	v_add_nc_u64_e32 v[46:47], -1, v[46:47]
; %bb.398:                              ;   in Loop: Header=BB2_323 Depth=3
	s_or_b32 exec_lo, exec_lo, s22
	v_add_nc_u32_e32 v45, 0xffffff81, v75
	v_lshrrev_b32_e32 v47, 23, v44
	s_mov_b32 s8, exec_lo
	s_delay_alu instid0(VALU_DEP_2) | instskip(NEXT) | instid1(VALU_DEP_1)
	v_cndmask_b32_e64 v45, v45, 0xffffff82, vcc_lo
	v_add3_u32 v47, v76, v45, v47
	v_and_b32_e32 v45, 0xfffff, v46
                                        ; implicit-def: $vgpr46
	s_delay_alu instid0(VALU_DEP_1) | instskip(SKIP_1) | instid1(VALU_DEP_2)
	v_dual_add_nc_u32 v75, 6, v47 :: v_dual_add_nc_u32 v44, v45, v44
	v_mov_b32_e32 v45, v65
	v_cmpx_ne_u32_e32 0, v75
	s_xor_b32 s8, exec_lo, s8
; %bb.399:                              ;   in Loop: Header=BB2_323 Depth=3
	s_delay_alu instid0(VALU_DEP_2) | instskip(SKIP_2) | instid1(VALU_DEP_2)
	v_cmp_lt_u64_e32 vcc_lo, 0xffffff, v[44:45]
	v_add_nc_u32_e32 v46, 7, v47
	v_cndmask_b32_e64 v47, 0, 1, vcc_lo
	v_cndmask_b32_e32 v46, v75, v46, vcc_lo
	s_delay_alu instid0(VALU_DEP_2)
	v_lshrrev_b64 v[44:45], v47, v[44:45]
; %bb.400:                              ;   in Loop: Header=BB2_323 Depth=3
	s_and_not1_saveexec_b32 s8, s8
; %bb.401:                              ;   in Loop: Header=BB2_323 Depth=3
	s_delay_alu instid0(VALU_DEP_1)
	v_bfe_u32 v46, v44, 23, 1
; %bb.402:                              ;   in Loop: Header=BB2_323 Depth=3
	s_or_b32 exec_lo, exec_lo, s8
	s_delay_alu instid0(VALU_DEP_2) | instskip(NEXT) | instid1(VALU_DEP_2)
	v_lshrrev_b64 v[44:45], 20, v[44:45]
	v_cmp_gt_i32_e32 vcc_lo, 16, v46
	v_min_i32_e32 v47, 15, v46
	v_cmp_eq_u32_e64 s8, 0, v46
	s_delay_alu instid0(VALU_DEP_2) | instskip(SKIP_1) | instid1(VALU_DEP_2)
	v_dual_cndmask_b32 v45, 0, v45, vcc_lo :: v_dual_lshlrev_b32 v47, 3, v47
	v_cndmask_b32_e32 v44, 7, v44, vcc_lo
	v_and_b32_e32 v47, 0xf8, v47
	s_delay_alu instid0(VALU_DEP_2) | instskip(NEXT) | instid1(VALU_DEP_2)
	v_cmp_eq_u64_e32 vcc_lo, 0, v[44:45]
	v_and_or_b32 v44, v44, 7, v47
	s_and_b32 s8, s8, vcc_lo
	s_delay_alu instid0(VALU_DEP_1) | instid1(SALU_CYCLE_1)
	v_cndmask_b32_e64 v44, v44, 0, s8
	s_delay_alu instid0(VALU_DEP_1)
	v_or_b32_e32 v76, v44, v5
.LBB2_403:                              ;   in Loop: Header=BB2_323 Depth=3
	s_or_b32 exec_lo, exec_lo, s21
                                        ; implicit-def: $vgpr5
.LBB2_404:                              ;   in Loop: Header=BB2_323 Depth=3
	s_and_not1_saveexec_b32 s8, s20
; %bb.405:                              ;   in Loop: Header=BB2_323 Depth=3
	v_or_b32_e32 v76, 0x7e, v5
; %bb.406:                              ;   in Loop: Header=BB2_323 Depth=3
	s_or_b32 exec_lo, exec_lo, s8
                                        ; implicit-def: $vgpr5
.LBB2_407:                              ;   in Loop: Header=BB2_323 Depth=3
	s_and_not1_saveexec_b32 s8, s19
; %bb.408:                              ;   in Loop: Header=BB2_323 Depth=3
	v_or_b32_e32 v76, 0x7f, v5
; %bb.409:                              ;   in Loop: Header=BB2_323 Depth=3
	s_or_b32 exec_lo, exec_lo, s8
	v_mov_b32_e32 v5, 0
	s_mov_b32 s8, exec_lo
	v_cmpx_lt_u32_e32 0xffffff, v4
	s_cbranch_execz .LBB2_417
; %bb.410:                              ;   in Loop: Header=BB2_323 Depth=3
	v_lshrrev_b32_e32 v44, 24, v4
	v_bfrev_b32_e32 v5, 1
	s_mov_b32 s19, exec_lo
	s_delay_alu instid0(VALU_DEP_2)
	v_cmpx_ne_u32_e32 0x80, v44
	s_cbranch_execz .LBB2_416
; %bb.411:                              ;   in Loop: Header=BB2_323 Depth=3
	v_bfe_u32 v46, v4, 24, 7
	v_mov_b32_e32 v5, 0x7f800001
	s_mov_b32 s20, exec_lo
	s_delay_alu instid0(VALU_DEP_2)
	v_cmpx_ne_u32_e32 0x7f, v46
	s_cbranch_execz .LBB2_415
; %bb.412:                              ;   in Loop: Header=BB2_323 Depth=3
	v_dual_mov_b32 v5, v65 :: v_dual_bitop2_b32 v4, 7, v44 bitop3:0x40
	v_lshrrev_b32_e32 v45, 3, v46
	s_mov_b32 s21, exec_lo
	v_cmpx_gt_u32_e32 8, v46
; %bb.413:                              ;   in Loop: Header=BB2_323 Depth=3
	s_delay_alu instid0(VALU_DEP_3) | instskip(NEXT) | instid1(VALU_DEP_1)
	v_clz_i32_u32_e32 v45, v4
	v_min_u32_e32 v45, 32, v45
	s_delay_alu instid0(VALU_DEP_1) | instskip(NEXT) | instid1(VALU_DEP_1)
	v_subrev_nc_u32_e32 v46, 28, v45
	v_lshlrev_b64_e32 v[4:5], v46, v[4:5]
	s_delay_alu instid0(VALU_DEP_1)
	v_dual_sub_nc_u32 v45, 29, v45 :: v_dual_bitop2_b32 v4, 7, v4 bitop3:0x40
; %bb.414:                              ;   in Loop: Header=BB2_323 Depth=3
	s_or_b32 exec_lo, exec_lo, s21
	v_lshlrev_b32_e32 v5, 24, v44
	s_delay_alu instid0(VALU_DEP_2) | instskip(NEXT) | instid1(VALU_DEP_3)
	v_lshlrev_b32_e32 v4, 20, v4
	v_lshl_add_u32 v44, v45, 23, 0x3c000000
	s_delay_alu instid0(VALU_DEP_3) | instskip(NEXT) | instid1(VALU_DEP_1)
	v_and_b32_e32 v5, 0x80000000, v5
	v_or3_b32 v5, v4, v5, v44
.LBB2_415:                              ;   in Loop: Header=BB2_323 Depth=3
	s_or_b32 exec_lo, exec_lo, s20
.LBB2_416:                              ;   in Loop: Header=BB2_323 Depth=3
	s_delay_alu instid0(SALU_CYCLE_1)
	s_or_b32 exec_lo, exec_lo, s19
.LBB2_417:                              ;   in Loop: Header=BB2_323 Depth=3
	s_delay_alu instid0(SALU_CYCLE_1) | instskip(NEXT) | instid1(VALU_DEP_1)
	s_or_b32 exec_lo, exec_lo, s8
	v_dual_mul_f32 v4, v30, v5 :: v_dual_mov_b32 v45, v65
                                        ; implicit-def: $vgpr77
	s_mov_b32 s8, exec_lo
	s_delay_alu instid0(VALU_DEP_1) | instskip(SKIP_1) | instid1(VALU_DEP_2)
	v_and_b32_e32 v44, 0x7f800000, v4
	v_lshrrev_b32_e32 v5, 24, v4
	v_cmpx_ne_u64_e32 0x7f800000, v[44:45]
	s_xor_b32 s19, exec_lo, s8
	s_cbranch_execz .LBB2_431
; %bb.418:                              ;   in Loop: Header=BB2_323 Depth=3
	v_and_b32_e32 v44, 0x7fffffff, v4
	v_mov_b32_e32 v45, v65
	v_and_b32_e32 v46, 0x80, v5
                                        ; implicit-def: $vgpr77
	s_mov_b32 s8, exec_lo
	s_delay_alu instid0(VALU_DEP_2)
	v_cmpx_gt_u64_e32 0x43e00001, v[44:45]
	s_xor_b32 s20, exec_lo, s8
	s_cbranch_execz .LBB2_428
; %bb.419:                              ;   in Loop: Header=BB2_323 Depth=3
	v_mov_b32_e32 v77, 0
	s_mov_b32 s21, exec_lo
	v_cmpx_ne_u32_e32 0, v4
	s_cbranch_execz .LBB2_427
; %bb.420:                              ;   in Loop: Header=BB2_323 Depth=3
	v_bfe_u32 v47, v4, 23, 8
	v_and_b32_e32 v44, 0x7fffff, v4
	s_mov_b32 s22, exec_lo
	s_delay_alu instid0(VALU_DEP_2) | instskip(NEXT) | instid1(VALU_DEP_2)
	v_cmp_gt_u32_e32 vcc_lo, 0x7a, v47
	v_or_b32_e32 v45, 0x800000, v44
	v_sub_nc_u32_e32 v5, 0x79, v47
	s_delay_alu instid0(VALU_DEP_1) | instskip(SKIP_1) | instid1(VALU_DEP_2)
	v_cndmask_b32_e32 v5, 0, v5, vcc_lo
	v_cmp_eq_u32_e32 vcc_lo, 0, v47
	v_cndmask_b32_e64 v75, v5, 0x78, vcc_lo
	v_cndmask_b32_e32 v44, v45, v44, vcc_lo
	s_delay_alu instid0(VALU_DEP_2) | instskip(SKIP_1) | instid1(VALU_DEP_2)
	v_dual_mov_b32 v45, v65 :: v_dual_add_nc_u32 v77, 19, v75
	v_add_nc_u32_e32 v4, 20, v75
	v_lshlrev_b64_e64 v[78:79], v77, 1
	s_delay_alu instid0(VALU_DEP_2) | instskip(NEXT) | instid1(VALU_DEP_1)
	v_lshlrev_b64_e64 v[4:5], v4, -1
	v_bfi_b32 v89, v5, 0, 0
	s_delay_alu instid0(VALU_DEP_2) | instskip(SKIP_1) | instid1(VALU_DEP_1)
	v_bfi_b32 v88, v4, 0, v44
	v_lshrrev_b64 v[4:5], v75, v[44:45]
	v_mov_b64_e32 v[44:45], v[4:5]
	s_delay_alu instid0(VALU_DEP_3)
	v_cmpx_eq_u64_e64 v[88:89], v[78:79]
; %bb.421:                              ;   in Loop: Header=BB2_323 Depth=3
	v_bfe_u32 v44, v4, 20, 1
	v_mov_b32_e32 v45, v65
	s_delay_alu instid0(VALU_DEP_1) | instskip(NEXT) | instid1(VALU_DEP_1)
	v_add_nc_u64_e32 v[44:45], v[4:5], v[44:45]
	v_add_nc_u64_e32 v[44:45], -1, v[44:45]
; %bb.422:                              ;   in Loop: Header=BB2_323 Depth=3
	s_or_b32 exec_lo, exec_lo, s22
	v_add_nc_u32_e32 v5, 0xffffff81, v47
	v_lshrrev_b32_e32 v45, 23, v4
	s_mov_b32 s8, exec_lo
	s_delay_alu instid0(VALU_DEP_2) | instskip(NEXT) | instid1(VALU_DEP_1)
	v_cndmask_b32_e64 v5, v5, 0xffffff82, vcc_lo
	v_add3_u32 v45, v75, v5, v45
	v_and_b32_e32 v5, 0xfffff, v44
                                        ; implicit-def: $vgpr44
	s_delay_alu instid0(VALU_DEP_1) | instskip(SKIP_1) | instid1(VALU_DEP_2)
	v_dual_add_nc_u32 v47, 6, v45 :: v_dual_add_nc_u32 v4, v5, v4
	v_mov_b32_e32 v5, v65
	v_cmpx_ne_u32_e32 0, v47
	s_xor_b32 s8, exec_lo, s8
; %bb.423:                              ;   in Loop: Header=BB2_323 Depth=3
	s_delay_alu instid0(VALU_DEP_2) | instskip(SKIP_2) | instid1(VALU_DEP_2)
	v_cmp_lt_u64_e32 vcc_lo, 0xffffff, v[4:5]
	v_add_nc_u32_e32 v44, 7, v45
	v_cndmask_b32_e64 v45, 0, 1, vcc_lo
	v_cndmask_b32_e32 v44, v47, v44, vcc_lo
	s_delay_alu instid0(VALU_DEP_2)
	v_lshrrev_b64 v[4:5], v45, v[4:5]
; %bb.424:                              ;   in Loop: Header=BB2_323 Depth=3
	s_and_not1_saveexec_b32 s8, s8
; %bb.425:                              ;   in Loop: Header=BB2_323 Depth=3
	s_delay_alu instid0(VALU_DEP_1)
	v_bfe_u32 v44, v4, 23, 1
; %bb.426:                              ;   in Loop: Header=BB2_323 Depth=3
	s_or_b32 exec_lo, exec_lo, s8
	s_delay_alu instid0(VALU_DEP_2) | instskip(NEXT) | instid1(VALU_DEP_2)
	v_lshrrev_b64 v[4:5], 20, v[4:5]
	v_cmp_gt_i32_e32 vcc_lo, 16, v44
	v_min_i32_e32 v45, 15, v44
	v_cmp_eq_u32_e64 s8, 0, v44
	s_delay_alu instid0(VALU_DEP_4) | instskip(NEXT) | instid1(VALU_DEP_3)
	v_cndmask_b32_e32 v5, 0, v5, vcc_lo
	v_dual_cndmask_b32 v4, 7, v4 :: v_dual_lshlrev_b32 v45, 3, v45
	s_delay_alu instid0(VALU_DEP_1) | instskip(NEXT) | instid1(VALU_DEP_2)
	v_and_b32_e32 v45, 0xf8, v45
	v_cmp_eq_u64_e32 vcc_lo, 0, v[4:5]
	s_delay_alu instid0(VALU_DEP_2)
	v_and_or_b32 v4, v4, 7, v45
	s_and_b32 s8, s8, vcc_lo
	s_delay_alu instid0(VALU_DEP_1) | instid1(SALU_CYCLE_1)
	v_cndmask_b32_e64 v4, v4, 0, s8
	s_delay_alu instid0(VALU_DEP_1)
	v_or_b32_e32 v77, v4, v46
.LBB2_427:                              ;   in Loop: Header=BB2_323 Depth=3
	s_or_b32 exec_lo, exec_lo, s21
                                        ; implicit-def: $vgpr46
.LBB2_428:                              ;   in Loop: Header=BB2_323 Depth=3
	s_and_not1_saveexec_b32 s8, s20
; %bb.429:                              ;   in Loop: Header=BB2_323 Depth=3
	v_or_b32_e32 v77, 0x7e, v46
; %bb.430:                              ;   in Loop: Header=BB2_323 Depth=3
	s_or_b32 exec_lo, exec_lo, s8
                                        ; implicit-def: $vgpr5
.LBB2_431:                              ;   in Loop: Header=BB2_323 Depth=3
	s_and_not1_saveexec_b32 s8, s19
; %bb.432:                              ;   in Loop: Header=BB2_323 Depth=3
	v_or_b32_e32 v77, 0x7f, v5
; %bb.433:                              ;   in Loop: Header=BB2_323 Depth=3
	s_or_b32 exec_lo, exec_lo, s8
	v_alignbit_b32 v4, v63, v73, v74
	v_dual_mov_b32 v5, v65 :: v_dual_mov_b32 v44, 0
	s_mov_b32 s8, exec_lo
	s_delay_alu instid0(VALU_DEP_2) | instskip(NEXT) | instid1(VALU_DEP_1)
	v_and_b32_e32 v45, 0xff, v4
	v_cmpx_ne_u16_e32 0, v45
	s_cbranch_execz .LBB2_439
; %bb.434:                              ;   in Loop: Header=BB2_323 Depth=3
	v_bfrev_b32_e32 v44, 1
	s_mov_b32 s19, exec_lo
	v_cmpx_ne_u16_e32 0x80, v45
	s_cbranch_execz .LBB2_438
; %bb.435:                              ;   in Loop: Header=BB2_323 Depth=3
	v_and_b32_e32 v45, 0x7f, v4
	v_mov_b32_e32 v44, 0x7f800001
	s_mov_b32 s20, exec_lo
	s_delay_alu instid0(VALU_DEP_2)
	v_cmpx_ne_u32_e32 0x7f, v45
	s_cbranch_execz .LBB2_437
; %bb.436:                              ;   in Loop: Header=BB2_323 Depth=3
	v_dual_lshrrev_b32 v46, 3, v45 :: v_dual_bitop2_b32 v44, 7, v4 bitop3:0x40
	v_cmp_gt_u32_e32 vcc_lo, 8, v45
	s_delay_alu instid0(VALU_DEP_2) | instskip(NEXT) | instid1(VALU_DEP_1)
	v_clz_i32_u32_e32 v44, v44
	v_min_u32_e32 v44, 32, v44
	s_delay_alu instid0(VALU_DEP_1) | instskip(SKIP_1) | instid1(VALU_DEP_1)
	v_subrev_nc_u32_e32 v47, 28, v44
	v_sub_nc_u32_e32 v44, 29, v44
	v_dual_cndmask_b32 v46, v46, v44, vcc_lo :: v_dual_cndmask_b32 v44, 0, v47, vcc_lo
	s_delay_alu instid0(VALU_DEP_1) | instskip(SKIP_1) | instid1(VALU_DEP_3)
	v_lshlrev_b64_e32 v[44:45], v44, v[4:5]
	v_lshlrev_b32_e32 v5, 24, v4
	v_lshl_add_u32 v45, v46, 23, 0x3c000000
	s_delay_alu instid0(VALU_DEP_2) | instskip(NEXT) | instid1(VALU_DEP_4)
	v_and_b32_e32 v5, 0x80000000, v5
	v_lshlrev_b32_e32 v44, 20, v44
	s_delay_alu instid0(VALU_DEP_1) | instskip(NEXT) | instid1(VALU_DEP_1)
	v_and_b32_e32 v44, 0x700000, v44
	v_or3_b32 v44, v44, v5, v45
.LBB2_437:                              ;   in Loop: Header=BB2_323 Depth=3
	s_or_b32 exec_lo, exec_lo, s20
.LBB2_438:                              ;   in Loop: Header=BB2_323 Depth=3
	s_delay_alu instid0(SALU_CYCLE_1)
	s_or_b32 exec_lo, exec_lo, s19
.LBB2_439:                              ;   in Loop: Header=BB2_323 Depth=3
	s_delay_alu instid0(SALU_CYCLE_1) | instskip(NEXT) | instid1(VALU_DEP_1)
	s_or_b32 exec_lo, exec_lo, s8
	v_dual_mul_f32 v44, v30, v44 :: v_dual_mov_b32 v47, v65
                                        ; implicit-def: $vgpr63
	s_mov_b32 s8, exec_lo
	s_delay_alu instid0(VALU_DEP_1) | instskip(SKIP_1) | instid1(VALU_DEP_2)
	v_and_b32_e32 v46, 0x7f800000, v44
	v_lshrrev_b32_e32 v5, 24, v44
	v_cmpx_ne_u64_e32 0x7f800000, v[46:47]
	s_xor_b32 s19, exec_lo, s8
	s_cbranch_execz .LBB2_453
; %bb.440:                              ;   in Loop: Header=BB2_323 Depth=3
	v_and_b32_e32 v46, 0x7fffffff, v44
	v_mov_b32_e32 v47, v65
	v_and_b32_e32 v5, 0x80, v5
                                        ; implicit-def: $vgpr63
	s_mov_b32 s8, exec_lo
	s_delay_alu instid0(VALU_DEP_2)
	v_cmpx_gt_u64_e32 0x43e00001, v[46:47]
	s_xor_b32 s20, exec_lo, s8
	s_cbranch_execz .LBB2_450
; %bb.441:                              ;   in Loop: Header=BB2_323 Depth=3
	v_mov_b32_e32 v63, 0
	s_mov_b32 s21, exec_lo
	v_cmpx_ne_u32_e32 0, v44
	s_cbranch_execz .LBB2_449
; %bb.442:                              ;   in Loop: Header=BB2_323 Depth=3
	v_bfe_u32 v63, v44, 23, 8
	v_and_b32_e32 v46, 0x7fffff, v44
	s_mov_b32 s22, exec_lo
	s_delay_alu instid0(VALU_DEP_2) | instskip(NEXT) | instid1(VALU_DEP_2)
	v_cmp_gt_u32_e32 vcc_lo, 0x7a, v63
	v_or_b32_e32 v47, 0x800000, v46
	v_sub_nc_u32_e32 v45, 0x79, v63
	s_delay_alu instid0(VALU_DEP_1) | instskip(SKIP_1) | instid1(VALU_DEP_4)
	v_cndmask_b32_e32 v45, 0, v45, vcc_lo
	v_cmp_eq_u32_e32 vcc_lo, 0, v63
	v_dual_cndmask_b32 v46, v47, v46 :: v_dual_mov_b32 v47, v65
	s_delay_alu instid0(VALU_DEP_3) | instskip(NEXT) | instid1(VALU_DEP_1)
	v_cndmask_b32_e64 v73, v45, 0x78, vcc_lo
	v_dual_add_nc_u32 v44, 20, v73 :: v_dual_add_nc_u32 v74, 19, v73
	s_delay_alu instid0(VALU_DEP_1) | instskip(NEXT) | instid1(VALU_DEP_2)
	v_lshlrev_b64_e64 v[44:45], v44, -1
	v_lshlrev_b64_e64 v[74:75], v74, 1
	s_delay_alu instid0(VALU_DEP_2) | instskip(NEXT) | instid1(VALU_DEP_3)
	v_bfi_b32 v79, v45, 0, 0
	v_bfi_b32 v78, v44, 0, v46
	v_lshrrev_b64 v[44:45], v73, v[46:47]
	s_delay_alu instid0(VALU_DEP_1) | instskip(NEXT) | instid1(VALU_DEP_3)
	v_mov_b64_e32 v[46:47], v[44:45]
	v_cmpx_eq_u64_e64 v[78:79], v[74:75]
; %bb.443:                              ;   in Loop: Header=BB2_323 Depth=3
	v_bfe_u32 v46, v44, 20, 1
	v_mov_b32_e32 v47, v65
	s_delay_alu instid0(VALU_DEP_1) | instskip(NEXT) | instid1(VALU_DEP_1)
	v_add_nc_u64_e32 v[46:47], v[44:45], v[46:47]
	v_add_nc_u64_e32 v[46:47], -1, v[46:47]
; %bb.444:                              ;   in Loop: Header=BB2_323 Depth=3
	s_or_b32 exec_lo, exec_lo, s22
	v_add_nc_u32_e32 v45, 0xffffff81, v63
	v_lshrrev_b32_e32 v47, 23, v44
	s_mov_b32 s8, exec_lo
	s_delay_alu instid0(VALU_DEP_2) | instskip(NEXT) | instid1(VALU_DEP_1)
	v_cndmask_b32_e64 v45, v45, 0xffffff82, vcc_lo
	v_add3_u32 v47, v73, v45, v47
	v_and_b32_e32 v45, 0xfffff, v46
                                        ; implicit-def: $vgpr46
	s_delay_alu instid0(VALU_DEP_1) | instskip(SKIP_1) | instid1(VALU_DEP_2)
	v_dual_add_nc_u32 v63, 6, v47 :: v_dual_add_nc_u32 v44, v45, v44
	v_mov_b32_e32 v45, v65
	v_cmpx_ne_u32_e32 0, v63
	s_xor_b32 s8, exec_lo, s8
; %bb.445:                              ;   in Loop: Header=BB2_323 Depth=3
	s_delay_alu instid0(VALU_DEP_2) | instskip(SKIP_2) | instid1(VALU_DEP_2)
	v_cmp_lt_u64_e32 vcc_lo, 0xffffff, v[44:45]
	v_add_nc_u32_e32 v46, 7, v47
	v_cndmask_b32_e64 v47, 0, 1, vcc_lo
	v_cndmask_b32_e32 v46, v63, v46, vcc_lo
	s_delay_alu instid0(VALU_DEP_2)
	v_lshrrev_b64 v[44:45], v47, v[44:45]
; %bb.446:                              ;   in Loop: Header=BB2_323 Depth=3
	s_and_not1_saveexec_b32 s8, s8
; %bb.447:                              ;   in Loop: Header=BB2_323 Depth=3
	s_delay_alu instid0(VALU_DEP_1)
	v_bfe_u32 v46, v44, 23, 1
; %bb.448:                              ;   in Loop: Header=BB2_323 Depth=3
	s_or_b32 exec_lo, exec_lo, s8
	s_delay_alu instid0(VALU_DEP_2) | instskip(NEXT) | instid1(VALU_DEP_2)
	v_lshrrev_b64 v[44:45], 20, v[44:45]
	v_cmp_gt_i32_e32 vcc_lo, 16, v46
	v_min_i32_e32 v47, 15, v46
	v_cmp_eq_u32_e64 s8, 0, v46
	s_delay_alu instid0(VALU_DEP_2) | instskip(SKIP_1) | instid1(VALU_DEP_2)
	v_dual_cndmask_b32 v45, 0, v45, vcc_lo :: v_dual_lshlrev_b32 v47, 3, v47
	v_cndmask_b32_e32 v44, 7, v44, vcc_lo
	v_and_b32_e32 v47, 0xf8, v47
	s_delay_alu instid0(VALU_DEP_2) | instskip(NEXT) | instid1(VALU_DEP_2)
	v_cmp_eq_u64_e32 vcc_lo, 0, v[44:45]
	v_and_or_b32 v44, v44, 7, v47
	s_and_b32 s8, s8, vcc_lo
	s_delay_alu instid0(VALU_DEP_1) | instid1(SALU_CYCLE_1)
	v_cndmask_b32_e64 v44, v44, 0, s8
	s_delay_alu instid0(VALU_DEP_1)
	v_or_b32_e32 v63, v44, v5
.LBB2_449:                              ;   in Loop: Header=BB2_323 Depth=3
	s_or_b32 exec_lo, exec_lo, s21
                                        ; implicit-def: $vgpr5
.LBB2_450:                              ;   in Loop: Header=BB2_323 Depth=3
	s_and_not1_saveexec_b32 s8, s20
; %bb.451:                              ;   in Loop: Header=BB2_323 Depth=3
	v_or_b32_e32 v63, 0x7e, v5
; %bb.452:                              ;   in Loop: Header=BB2_323 Depth=3
	s_or_b32 exec_lo, exec_lo, s8
                                        ; implicit-def: $vgpr5
.LBB2_453:                              ;   in Loop: Header=BB2_323 Depth=3
	s_and_not1_saveexec_b32 s8, s19
; %bb.454:                              ;   in Loop: Header=BB2_323 Depth=3
	v_or_b32_e32 v63, 0x7f, v5
; %bb.455:                              ;   in Loop: Header=BB2_323 Depth=3
	s_or_b32 exec_lo, exec_lo, s8
	v_lshrrev_b16 v44, 8, v4
	v_mov_b32_e32 v5, 0
	s_mov_b32 s8, exec_lo
	s_delay_alu instid0(VALU_DEP_2)
	v_cmpx_ne_u16_e32 0, v44
	s_cbranch_execz .LBB2_463
; %bb.456:                              ;   in Loop: Header=BB2_323 Depth=3
	v_bfrev_b32_e32 v5, 1
	s_mov_b32 s19, exec_lo
	v_cmpx_ne_u16_e32 0x80, v44
	s_cbranch_execz .LBB2_462
; %bb.457:                              ;   in Loop: Header=BB2_323 Depth=3
	v_and_b32_e32 v44, 0xffff, v44
	v_mov_b32_e32 v5, 0x7f800001
	s_mov_b32 s20, exec_lo
	s_delay_alu instid0(VALU_DEP_2) | instskip(NEXT) | instid1(VALU_DEP_1)
	v_and_b32_e32 v46, 0x7f, v44
	v_cmpx_ne_u32_e32 0x7f, v46
	s_cbranch_execz .LBB2_461
; %bb.458:                              ;   in Loop: Header=BB2_323 Depth=3
	v_dual_mov_b32 v45, v65 :: v_dual_bitop2_b32 v44, 7, v44 bitop3:0x40
	v_lshrrev_b32_e32 v5, 3, v46
	s_mov_b32 s21, exec_lo
	v_cmpx_gt_u32_e32 8, v46
; %bb.459:                              ;   in Loop: Header=BB2_323 Depth=3
	s_delay_alu instid0(VALU_DEP_3) | instskip(NEXT) | instid1(VALU_DEP_1)
	v_clz_i32_u32_e32 v5, v44
	v_min_u32_e32 v5, 32, v5
	s_delay_alu instid0(VALU_DEP_1) | instskip(NEXT) | instid1(VALU_DEP_1)
	v_subrev_nc_u32_e32 v46, 28, v5
	v_lshlrev_b64_e32 v[44:45], v46, v[44:45]
	s_delay_alu instid0(VALU_DEP_1)
	v_dual_sub_nc_u32 v5, 29, v5 :: v_dual_bitop2_b32 v44, 7, v44 bitop3:0x40
; %bb.460:                              ;   in Loop: Header=BB2_323 Depth=3
	s_or_b32 exec_lo, exec_lo, s21
	v_lshlrev_b32_e32 v45, 16, v4
	s_delay_alu instid0(VALU_DEP_2) | instskip(NEXT) | instid1(VALU_DEP_3)
	v_lshlrev_b32_e32 v44, 20, v44
	v_lshl_add_u32 v5, v5, 23, 0x3c000000
	s_delay_alu instid0(VALU_DEP_3) | instskip(NEXT) | instid1(VALU_DEP_1)
	v_and_b32_e32 v45, 0x80000000, v45
	v_or3_b32 v5, v44, v45, v5
.LBB2_461:                              ;   in Loop: Header=BB2_323 Depth=3
	s_or_b32 exec_lo, exec_lo, s20
.LBB2_462:                              ;   in Loop: Header=BB2_323 Depth=3
	s_delay_alu instid0(SALU_CYCLE_1)
	s_or_b32 exec_lo, exec_lo, s19
.LBB2_463:                              ;   in Loop: Header=BB2_323 Depth=3
	s_delay_alu instid0(SALU_CYCLE_1) | instskip(NEXT) | instid1(VALU_DEP_1)
	s_or_b32 exec_lo, exec_lo, s8
	v_dual_mul_f32 v44, v30, v5 :: v_dual_mov_b32 v47, v65
                                        ; implicit-def: $vgpr73
	s_mov_b32 s8, exec_lo
	s_delay_alu instid0(VALU_DEP_1) | instskip(SKIP_1) | instid1(VALU_DEP_2)
	v_and_b32_e32 v46, 0x7f800000, v44
	v_lshrrev_b32_e32 v5, 24, v44
	v_cmpx_ne_u64_e32 0x7f800000, v[46:47]
	s_xor_b32 s19, exec_lo, s8
	s_cbranch_execz .LBB2_477
; %bb.464:                              ;   in Loop: Header=BB2_323 Depth=3
	v_and_b32_e32 v46, 0x7fffffff, v44
	v_mov_b32_e32 v47, v65
	v_and_b32_e32 v5, 0x80, v5
                                        ; implicit-def: $vgpr73
	s_mov_b32 s8, exec_lo
	s_delay_alu instid0(VALU_DEP_2)
	v_cmpx_gt_u64_e32 0x43e00001, v[46:47]
	s_xor_b32 s20, exec_lo, s8
	s_cbranch_execz .LBB2_474
; %bb.465:                              ;   in Loop: Header=BB2_323 Depth=3
	v_mov_b32_e32 v73, 0
	s_mov_b32 s21, exec_lo
	v_cmpx_ne_u32_e32 0, v44
	s_cbranch_execz .LBB2_473
; %bb.466:                              ;   in Loop: Header=BB2_323 Depth=3
	v_bfe_u32 v73, v44, 23, 8
	v_and_b32_e32 v46, 0x7fffff, v44
	s_mov_b32 s22, exec_lo
	s_delay_alu instid0(VALU_DEP_2) | instskip(NEXT) | instid1(VALU_DEP_2)
	v_cmp_gt_u32_e32 vcc_lo, 0x7a, v73
	v_or_b32_e32 v47, 0x800000, v46
	v_sub_nc_u32_e32 v45, 0x79, v73
	s_delay_alu instid0(VALU_DEP_1) | instskip(SKIP_1) | instid1(VALU_DEP_2)
	v_cndmask_b32_e32 v45, 0, v45, vcc_lo
	v_cmp_eq_u32_e32 vcc_lo, 0, v73
	v_cndmask_b32_e64 v74, v45, 0x78, vcc_lo
	v_dual_cndmask_b32 v46, v47, v46 :: v_dual_mov_b32 v47, v65
	s_delay_alu instid0(VALU_DEP_2) | instskip(NEXT) | instid1(VALU_DEP_1)
	v_dual_add_nc_u32 v75, 19, v74 :: v_dual_add_nc_u32 v44, 20, v74
	v_lshlrev_b64_e64 v[78:79], v75, 1
	s_delay_alu instid0(VALU_DEP_2) | instskip(NEXT) | instid1(VALU_DEP_1)
	v_lshlrev_b64_e64 v[44:45], v44, -1
	v_bfi_b32 v89, v45, 0, 0
	s_delay_alu instid0(VALU_DEP_2) | instskip(SKIP_1) | instid1(VALU_DEP_1)
	v_bfi_b32 v88, v44, 0, v46
	v_lshrrev_b64 v[44:45], v74, v[46:47]
	v_mov_b64_e32 v[46:47], v[44:45]
	s_delay_alu instid0(VALU_DEP_3)
	v_cmpx_eq_u64_e64 v[88:89], v[78:79]
; %bb.467:                              ;   in Loop: Header=BB2_323 Depth=3
	v_bfe_u32 v46, v44, 20, 1
	v_mov_b32_e32 v47, v65
	s_delay_alu instid0(VALU_DEP_1) | instskip(NEXT) | instid1(VALU_DEP_1)
	v_add_nc_u64_e32 v[46:47], v[44:45], v[46:47]
	v_add_nc_u64_e32 v[46:47], -1, v[46:47]
; %bb.468:                              ;   in Loop: Header=BB2_323 Depth=3
	s_or_b32 exec_lo, exec_lo, s22
	v_add_nc_u32_e32 v45, 0xffffff81, v73
	v_lshrrev_b32_e32 v47, 23, v44
	s_mov_b32 s8, exec_lo
	s_delay_alu instid0(VALU_DEP_2) | instskip(NEXT) | instid1(VALU_DEP_1)
	v_cndmask_b32_e64 v45, v45, 0xffffff82, vcc_lo
	v_add3_u32 v47, v74, v45, v47
	v_and_b32_e32 v45, 0xfffff, v46
                                        ; implicit-def: $vgpr46
	s_delay_alu instid0(VALU_DEP_1) | instskip(SKIP_1) | instid1(VALU_DEP_2)
	v_dual_add_nc_u32 v73, 6, v47 :: v_dual_add_nc_u32 v44, v45, v44
	v_mov_b32_e32 v45, v65
	v_cmpx_ne_u32_e32 0, v73
	s_xor_b32 s8, exec_lo, s8
; %bb.469:                              ;   in Loop: Header=BB2_323 Depth=3
	s_delay_alu instid0(VALU_DEP_2) | instskip(SKIP_2) | instid1(VALU_DEP_2)
	v_cmp_lt_u64_e32 vcc_lo, 0xffffff, v[44:45]
	v_add_nc_u32_e32 v46, 7, v47
	v_cndmask_b32_e64 v47, 0, 1, vcc_lo
	v_cndmask_b32_e32 v46, v73, v46, vcc_lo
	s_delay_alu instid0(VALU_DEP_2)
	v_lshrrev_b64 v[44:45], v47, v[44:45]
; %bb.470:                              ;   in Loop: Header=BB2_323 Depth=3
	s_and_not1_saveexec_b32 s8, s8
; %bb.471:                              ;   in Loop: Header=BB2_323 Depth=3
	s_delay_alu instid0(VALU_DEP_1)
	v_bfe_u32 v46, v44, 23, 1
; %bb.472:                              ;   in Loop: Header=BB2_323 Depth=3
	s_or_b32 exec_lo, exec_lo, s8
	s_delay_alu instid0(VALU_DEP_2) | instskip(NEXT) | instid1(VALU_DEP_2)
	v_lshrrev_b64 v[44:45], 20, v[44:45]
	v_cmp_gt_i32_e32 vcc_lo, 16, v46
	v_min_i32_e32 v47, 15, v46
	v_cmp_eq_u32_e64 s8, 0, v46
	s_delay_alu instid0(VALU_DEP_2) | instskip(SKIP_1) | instid1(VALU_DEP_2)
	v_dual_cndmask_b32 v45, 0, v45, vcc_lo :: v_dual_lshlrev_b32 v47, 3, v47
	v_cndmask_b32_e32 v44, 7, v44, vcc_lo
	v_and_b32_e32 v47, 0xf8, v47
	s_delay_alu instid0(VALU_DEP_2) | instskip(NEXT) | instid1(VALU_DEP_2)
	v_cmp_eq_u64_e32 vcc_lo, 0, v[44:45]
	v_and_or_b32 v44, v44, 7, v47
	s_and_b32 s8, s8, vcc_lo
	s_delay_alu instid0(VALU_DEP_1) | instid1(SALU_CYCLE_1)
	v_cndmask_b32_e64 v44, v44, 0, s8
	s_delay_alu instid0(VALU_DEP_1)
	v_or_b32_e32 v73, v44, v5
.LBB2_473:                              ;   in Loop: Header=BB2_323 Depth=3
	s_or_b32 exec_lo, exec_lo, s21
                                        ; implicit-def: $vgpr5
.LBB2_474:                              ;   in Loop: Header=BB2_323 Depth=3
	s_and_not1_saveexec_b32 s8, s20
; %bb.475:                              ;   in Loop: Header=BB2_323 Depth=3
	v_or_b32_e32 v73, 0x7e, v5
; %bb.476:                              ;   in Loop: Header=BB2_323 Depth=3
	s_or_b32 exec_lo, exec_lo, s8
                                        ; implicit-def: $vgpr5
.LBB2_477:                              ;   in Loop: Header=BB2_323 Depth=3
	s_and_not1_saveexec_b32 s8, s19
; %bb.478:                              ;   in Loop: Header=BB2_323 Depth=3
	v_or_b32_e32 v73, 0x7f, v5
; %bb.479:                              ;   in Loop: Header=BB2_323 Depth=3
	s_or_b32 exec_lo, exec_lo, s8
	v_dual_mov_b32 v44, 0 :: v_dual_lshrrev_b32 v5, 16, v4
	s_mov_b32 s8, exec_lo
	s_delay_alu instid0(VALU_DEP_1) | instskip(NEXT) | instid1(VALU_DEP_1)
	v_and_b32_e32 v45, 0xff, v5
	v_cmpx_ne_u16_e32 0, v45
	s_cbranch_execz .LBB2_487
; %bb.480:                              ;   in Loop: Header=BB2_323 Depth=3
	v_bfrev_b32_e32 v44, 1
	s_mov_b32 s19, exec_lo
	v_cmpx_ne_u16_e32 0x80, v45
	s_cbranch_execz .LBB2_486
; %bb.481:                              ;   in Loop: Header=BB2_323 Depth=3
	v_bfe_u32 v47, v4, 16, 7
	v_mov_b32_e32 v44, 0x7f800001
	s_mov_b32 s20, exec_lo
	s_delay_alu instid0(VALU_DEP_2)
	v_cmpx_ne_u32_e32 0x7f, v47
	s_cbranch_execz .LBB2_485
; %bb.482:                              ;   in Loop: Header=BB2_323 Depth=3
	v_dual_mov_b32 v45, v65 :: v_dual_bitop2_b32 v44, 7, v5 bitop3:0x40
	v_lshrrev_b32_e32 v46, 3, v47
	s_mov_b32 s21, exec_lo
	v_cmpx_gt_u32_e32 8, v47
; %bb.483:                              ;   in Loop: Header=BB2_323 Depth=3
	s_delay_alu instid0(VALU_DEP_3) | instskip(NEXT) | instid1(VALU_DEP_1)
	v_clz_i32_u32_e32 v46, v44
	v_min_u32_e32 v46, 32, v46
	s_delay_alu instid0(VALU_DEP_1) | instskip(NEXT) | instid1(VALU_DEP_1)
	v_subrev_nc_u32_e32 v47, 28, v46
	v_lshlrev_b64_e32 v[44:45], v47, v[44:45]
	s_delay_alu instid0(VALU_DEP_1)
	v_dual_sub_nc_u32 v46, 29, v46 :: v_dual_bitop2_b32 v44, 7, v44 bitop3:0x40
; %bb.484:                              ;   in Loop: Header=BB2_323 Depth=3
	s_or_b32 exec_lo, exec_lo, s21
	s_delay_alu instid0(VALU_DEP_1) | instskip(NEXT) | instid1(VALU_DEP_2)
	v_dual_lshlrev_b32 v5, 24, v5 :: v_dual_lshlrev_b32 v44, 20, v44
	v_lshl_add_u32 v45, v46, 23, 0x3c000000
	s_delay_alu instid0(VALU_DEP_2) | instskip(NEXT) | instid1(VALU_DEP_1)
	v_and_b32_e32 v5, 0x80000000, v5
	v_or3_b32 v44, v44, v5, v45
.LBB2_485:                              ;   in Loop: Header=BB2_323 Depth=3
	s_or_b32 exec_lo, exec_lo, s20
.LBB2_486:                              ;   in Loop: Header=BB2_323 Depth=3
	s_delay_alu instid0(SALU_CYCLE_1)
	s_or_b32 exec_lo, exec_lo, s19
.LBB2_487:                              ;   in Loop: Header=BB2_323 Depth=3
	s_delay_alu instid0(SALU_CYCLE_1) | instskip(NEXT) | instid1(VALU_DEP_1)
	s_or_b32 exec_lo, exec_lo, s8
	v_dual_mul_f32 v44, v30, v44 :: v_dual_mov_b32 v47, v65
                                        ; implicit-def: $vgpr74
	s_mov_b32 s8, exec_lo
	s_delay_alu instid0(VALU_DEP_1) | instskip(SKIP_1) | instid1(VALU_DEP_2)
	v_and_b32_e32 v46, 0x7f800000, v44
	v_lshrrev_b32_e32 v5, 24, v44
	v_cmpx_ne_u64_e32 0x7f800000, v[46:47]
	s_xor_b32 s19, exec_lo, s8
	s_cbranch_execz .LBB2_501
; %bb.488:                              ;   in Loop: Header=BB2_323 Depth=3
	v_and_b32_e32 v46, 0x7fffffff, v44
	v_mov_b32_e32 v47, v65
	v_and_b32_e32 v5, 0x80, v5
                                        ; implicit-def: $vgpr74
	s_mov_b32 s8, exec_lo
	s_delay_alu instid0(VALU_DEP_2)
	v_cmpx_gt_u64_e32 0x43e00001, v[46:47]
	s_xor_b32 s20, exec_lo, s8
	s_cbranch_execz .LBB2_498
; %bb.489:                              ;   in Loop: Header=BB2_323 Depth=3
	v_mov_b32_e32 v74, 0
	s_mov_b32 s21, exec_lo
	v_cmpx_ne_u32_e32 0, v44
	s_cbranch_execz .LBB2_497
; %bb.490:                              ;   in Loop: Header=BB2_323 Depth=3
	v_bfe_u32 v74, v44, 23, 8
	v_and_b32_e32 v46, 0x7fffff, v44
	s_mov_b32 s22, exec_lo
	s_delay_alu instid0(VALU_DEP_2) | instskip(SKIP_1) | instid1(VALU_DEP_3)
	v_sub_nc_u32_e32 v45, 0x79, v74
	v_cmp_gt_u32_e32 vcc_lo, 0x7a, v74
	v_or_b32_e32 v47, 0x800000, v46
	s_delay_alu instid0(VALU_DEP_3) | instskip(SKIP_1) | instid1(VALU_DEP_2)
	v_cndmask_b32_e32 v45, 0, v45, vcc_lo
	v_cmp_eq_u32_e32 vcc_lo, 0, v74
	v_cndmask_b32_e64 v75, v45, 0x78, vcc_lo
	s_delay_alu instid0(VALU_DEP_4) | instskip(NEXT) | instid1(VALU_DEP_2)
	v_dual_cndmask_b32 v46, v47, v46 :: v_dual_mov_b32 v47, v65
	v_dual_add_nc_u32 v44, 20, v75 :: v_dual_add_nc_u32 v78, 19, v75
	s_delay_alu instid0(VALU_DEP_1) | instskip(NEXT) | instid1(VALU_DEP_2)
	v_lshlrev_b64_e64 v[44:45], v44, -1
	v_lshlrev_b64_e64 v[78:79], v78, 1
	s_delay_alu instid0(VALU_DEP_2) | instskip(NEXT) | instid1(VALU_DEP_3)
	v_bfi_b32 v89, v45, 0, 0
	v_bfi_b32 v88, v44, 0, v46
	v_lshrrev_b64 v[44:45], v75, v[46:47]
	s_delay_alu instid0(VALU_DEP_1) | instskip(NEXT) | instid1(VALU_DEP_3)
	v_mov_b64_e32 v[46:47], v[44:45]
	v_cmpx_eq_u64_e64 v[88:89], v[78:79]
; %bb.491:                              ;   in Loop: Header=BB2_323 Depth=3
	v_bfe_u32 v46, v44, 20, 1
	v_mov_b32_e32 v47, v65
	s_delay_alu instid0(VALU_DEP_1) | instskip(NEXT) | instid1(VALU_DEP_1)
	v_add_nc_u64_e32 v[46:47], v[44:45], v[46:47]
	v_add_nc_u64_e32 v[46:47], -1, v[46:47]
; %bb.492:                              ;   in Loop: Header=BB2_323 Depth=3
	s_or_b32 exec_lo, exec_lo, s22
	v_add_nc_u32_e32 v45, 0xffffff81, v74
	v_lshrrev_b32_e32 v47, 23, v44
	s_mov_b32 s8, exec_lo
	s_delay_alu instid0(VALU_DEP_2) | instskip(NEXT) | instid1(VALU_DEP_1)
	v_cndmask_b32_e64 v45, v45, 0xffffff82, vcc_lo
	v_add3_u32 v47, v75, v45, v47
	v_and_b32_e32 v45, 0xfffff, v46
                                        ; implicit-def: $vgpr46
	s_delay_alu instid0(VALU_DEP_1) | instskip(SKIP_1) | instid1(VALU_DEP_2)
	v_dual_add_nc_u32 v74, 6, v47 :: v_dual_add_nc_u32 v44, v45, v44
	v_mov_b32_e32 v45, v65
	v_cmpx_ne_u32_e32 0, v74
	s_xor_b32 s8, exec_lo, s8
; %bb.493:                              ;   in Loop: Header=BB2_323 Depth=3
	s_delay_alu instid0(VALU_DEP_2) | instskip(SKIP_2) | instid1(VALU_DEP_2)
	v_cmp_lt_u64_e32 vcc_lo, 0xffffff, v[44:45]
	v_add_nc_u32_e32 v46, 7, v47
	v_cndmask_b32_e64 v47, 0, 1, vcc_lo
	v_cndmask_b32_e32 v46, v74, v46, vcc_lo
	s_delay_alu instid0(VALU_DEP_2)
	v_lshrrev_b64 v[44:45], v47, v[44:45]
; %bb.494:                              ;   in Loop: Header=BB2_323 Depth=3
	s_and_not1_saveexec_b32 s8, s8
; %bb.495:                              ;   in Loop: Header=BB2_323 Depth=3
	s_delay_alu instid0(VALU_DEP_1)
	v_bfe_u32 v46, v44, 23, 1
; %bb.496:                              ;   in Loop: Header=BB2_323 Depth=3
	s_or_b32 exec_lo, exec_lo, s8
	s_delay_alu instid0(VALU_DEP_2) | instskip(NEXT) | instid1(VALU_DEP_2)
	v_lshrrev_b64 v[44:45], 20, v[44:45]
	v_cmp_gt_i32_e32 vcc_lo, 16, v46
	v_min_i32_e32 v47, 15, v46
	v_cmp_eq_u32_e64 s8, 0, v46
	s_delay_alu instid0(VALU_DEP_2) | instskip(SKIP_1) | instid1(VALU_DEP_2)
	v_dual_cndmask_b32 v45, 0, v45, vcc_lo :: v_dual_lshlrev_b32 v47, 3, v47
	v_cndmask_b32_e32 v44, 7, v44, vcc_lo
	v_and_b32_e32 v47, 0xf8, v47
	s_delay_alu instid0(VALU_DEP_2) | instskip(NEXT) | instid1(VALU_DEP_2)
	v_cmp_eq_u64_e32 vcc_lo, 0, v[44:45]
	v_and_or_b32 v44, v44, 7, v47
	s_and_b32 s8, s8, vcc_lo
	s_delay_alu instid0(VALU_DEP_1) | instid1(SALU_CYCLE_1)
	v_cndmask_b32_e64 v44, v44, 0, s8
	s_delay_alu instid0(VALU_DEP_1)
	v_or_b32_e32 v74, v44, v5
.LBB2_497:                              ;   in Loop: Header=BB2_323 Depth=3
	s_or_b32 exec_lo, exec_lo, s21
                                        ; implicit-def: $vgpr5
.LBB2_498:                              ;   in Loop: Header=BB2_323 Depth=3
	s_and_not1_saveexec_b32 s8, s20
; %bb.499:                              ;   in Loop: Header=BB2_323 Depth=3
	v_or_b32_e32 v74, 0x7e, v5
; %bb.500:                              ;   in Loop: Header=BB2_323 Depth=3
	s_or_b32 exec_lo, exec_lo, s8
                                        ; implicit-def: $vgpr5
.LBB2_501:                              ;   in Loop: Header=BB2_323 Depth=3
	s_and_not1_saveexec_b32 s8, s19
; %bb.502:                              ;   in Loop: Header=BB2_323 Depth=3
	v_or_b32_e32 v74, 0x7f, v5
; %bb.503:                              ;   in Loop: Header=BB2_323 Depth=3
	s_or_b32 exec_lo, exec_lo, s8
	v_mov_b32_e32 v5, 0
	s_mov_b32 s8, exec_lo
	v_cmpx_lt_u32_e32 0xffffff, v4
	s_cbranch_execz .LBB2_511
; %bb.504:                              ;   in Loop: Header=BB2_323 Depth=3
	v_lshrrev_b32_e32 v44, 24, v4
	v_bfrev_b32_e32 v5, 1
	s_mov_b32 s19, exec_lo
	s_delay_alu instid0(VALU_DEP_2)
	v_cmpx_ne_u32_e32 0x80, v44
	s_cbranch_execz .LBB2_510
; %bb.505:                              ;   in Loop: Header=BB2_323 Depth=3
	v_bfe_u32 v46, v4, 24, 7
	v_mov_b32_e32 v5, 0x7f800001
	s_mov_b32 s20, exec_lo
	s_delay_alu instid0(VALU_DEP_2)
	v_cmpx_ne_u32_e32 0x7f, v46
	s_cbranch_execz .LBB2_509
; %bb.506:                              ;   in Loop: Header=BB2_323 Depth=3
	v_dual_mov_b32 v5, v65 :: v_dual_bitop2_b32 v4, 7, v44 bitop3:0x40
	v_lshrrev_b32_e32 v45, 3, v46
	s_mov_b32 s21, exec_lo
	v_cmpx_gt_u32_e32 8, v46
; %bb.507:                              ;   in Loop: Header=BB2_323 Depth=3
	s_delay_alu instid0(VALU_DEP_3) | instskip(NEXT) | instid1(VALU_DEP_1)
	v_clz_i32_u32_e32 v45, v4
	v_min_u32_e32 v45, 32, v45
	s_delay_alu instid0(VALU_DEP_1) | instskip(NEXT) | instid1(VALU_DEP_1)
	v_subrev_nc_u32_e32 v46, 28, v45
	v_lshlrev_b64_e32 v[4:5], v46, v[4:5]
	s_delay_alu instid0(VALU_DEP_1)
	v_dual_sub_nc_u32 v45, 29, v45 :: v_dual_bitop2_b32 v4, 7, v4 bitop3:0x40
; %bb.508:                              ;   in Loop: Header=BB2_323 Depth=3
	s_or_b32 exec_lo, exec_lo, s21
	v_lshlrev_b32_e32 v5, 24, v44
	s_delay_alu instid0(VALU_DEP_2) | instskip(NEXT) | instid1(VALU_DEP_3)
	v_lshlrev_b32_e32 v4, 20, v4
	v_lshl_add_u32 v44, v45, 23, 0x3c000000
	s_delay_alu instid0(VALU_DEP_3) | instskip(NEXT) | instid1(VALU_DEP_1)
	v_and_b32_e32 v5, 0x80000000, v5
	v_or3_b32 v5, v4, v5, v44
.LBB2_509:                              ;   in Loop: Header=BB2_323 Depth=3
	s_or_b32 exec_lo, exec_lo, s20
.LBB2_510:                              ;   in Loop: Header=BB2_323 Depth=3
	s_delay_alu instid0(SALU_CYCLE_1)
	s_or_b32 exec_lo, exec_lo, s19
.LBB2_511:                              ;   in Loop: Header=BB2_323 Depth=3
	s_delay_alu instid0(SALU_CYCLE_1) | instskip(NEXT) | instid1(VALU_DEP_1)
	s_or_b32 exec_lo, exec_lo, s8
	v_dual_mul_f32 v4, v30, v5 :: v_dual_mov_b32 v45, v65
                                        ; implicit-def: $vgpr75
	s_mov_b32 s8, exec_lo
	s_delay_alu instid0(VALU_DEP_1) | instskip(SKIP_1) | instid1(VALU_DEP_2)
	v_and_b32_e32 v44, 0x7f800000, v4
	v_lshrrev_b32_e32 v5, 24, v4
	v_cmpx_ne_u64_e32 0x7f800000, v[44:45]
	s_xor_b32 s19, exec_lo, s8
	s_cbranch_execz .LBB2_525
; %bb.512:                              ;   in Loop: Header=BB2_323 Depth=3
	v_and_b32_e32 v44, 0x7fffffff, v4
	v_mov_b32_e32 v45, v65
	v_and_b32_e32 v46, 0x80, v5
                                        ; implicit-def: $vgpr75
	s_mov_b32 s8, exec_lo
	s_delay_alu instid0(VALU_DEP_2)
	v_cmpx_gt_u64_e32 0x43e00001, v[44:45]
	s_xor_b32 s20, exec_lo, s8
	s_cbranch_execz .LBB2_522
; %bb.513:                              ;   in Loop: Header=BB2_323 Depth=3
	v_mov_b32_e32 v75, 0
	s_mov_b32 s21, exec_lo
	v_cmpx_ne_u32_e32 0, v4
	s_cbranch_execz .LBB2_521
; %bb.514:                              ;   in Loop: Header=BB2_323 Depth=3
	v_bfe_u32 v47, v4, 23, 8
	v_and_b32_e32 v44, 0x7fffff, v4
	s_mov_b32 s22, exec_lo
	s_delay_alu instid0(VALU_DEP_2) | instskip(NEXT) | instid1(VALU_DEP_2)
	v_cmp_gt_u32_e32 vcc_lo, 0x7a, v47
	v_or_b32_e32 v45, 0x800000, v44
	v_sub_nc_u32_e32 v5, 0x79, v47
	s_delay_alu instid0(VALU_DEP_1) | instskip(SKIP_1) | instid1(VALU_DEP_2)
	v_cndmask_b32_e32 v5, 0, v5, vcc_lo
	v_cmp_eq_u32_e32 vcc_lo, 0, v47
	v_cndmask_b32_e64 v75, v5, 0x78, vcc_lo
	v_cndmask_b32_e32 v44, v45, v44, vcc_lo
	s_delay_alu instid0(VALU_DEP_2) | instskip(SKIP_1) | instid1(VALU_DEP_2)
	v_dual_mov_b32 v45, v65 :: v_dual_add_nc_u32 v78, 19, v75
	v_add_nc_u32_e32 v4, 20, v75
	v_lshlrev_b64_e64 v[78:79], v78, 1
	s_delay_alu instid0(VALU_DEP_2) | instskip(NEXT) | instid1(VALU_DEP_1)
	v_lshlrev_b64_e64 v[4:5], v4, -1
	v_bfi_b32 v89, v5, 0, 0
	s_delay_alu instid0(VALU_DEP_2) | instskip(SKIP_1) | instid1(VALU_DEP_1)
	v_bfi_b32 v88, v4, 0, v44
	v_lshrrev_b64 v[4:5], v75, v[44:45]
	v_mov_b64_e32 v[44:45], v[4:5]
	s_delay_alu instid0(VALU_DEP_3)
	v_cmpx_eq_u64_e64 v[88:89], v[78:79]
; %bb.515:                              ;   in Loop: Header=BB2_323 Depth=3
	v_bfe_u32 v44, v4, 20, 1
	v_mov_b32_e32 v45, v65
	s_delay_alu instid0(VALU_DEP_1) | instskip(NEXT) | instid1(VALU_DEP_1)
	v_add_nc_u64_e32 v[44:45], v[4:5], v[44:45]
	v_add_nc_u64_e32 v[44:45], -1, v[44:45]
; %bb.516:                              ;   in Loop: Header=BB2_323 Depth=3
	s_or_b32 exec_lo, exec_lo, s22
	v_add_nc_u32_e32 v5, 0xffffff81, v47
	v_lshrrev_b32_e32 v45, 23, v4
	s_mov_b32 s8, exec_lo
	s_delay_alu instid0(VALU_DEP_2) | instskip(NEXT) | instid1(VALU_DEP_1)
	v_cndmask_b32_e64 v5, v5, 0xffffff82, vcc_lo
	v_add3_u32 v45, v75, v5, v45
	v_and_b32_e32 v5, 0xfffff, v44
                                        ; implicit-def: $vgpr44
	s_delay_alu instid0(VALU_DEP_1) | instskip(SKIP_1) | instid1(VALU_DEP_2)
	v_dual_add_nc_u32 v47, 6, v45 :: v_dual_add_nc_u32 v4, v5, v4
	v_mov_b32_e32 v5, v65
	v_cmpx_ne_u32_e32 0, v47
	s_xor_b32 s8, exec_lo, s8
; %bb.517:                              ;   in Loop: Header=BB2_323 Depth=3
	s_delay_alu instid0(VALU_DEP_2) | instskip(SKIP_2) | instid1(VALU_DEP_2)
	v_cmp_lt_u64_e32 vcc_lo, 0xffffff, v[4:5]
	v_add_nc_u32_e32 v44, 7, v45
	v_cndmask_b32_e64 v45, 0, 1, vcc_lo
	v_cndmask_b32_e32 v44, v47, v44, vcc_lo
	s_delay_alu instid0(VALU_DEP_2)
	v_lshrrev_b64 v[4:5], v45, v[4:5]
; %bb.518:                              ;   in Loop: Header=BB2_323 Depth=3
	s_and_not1_saveexec_b32 s8, s8
; %bb.519:                              ;   in Loop: Header=BB2_323 Depth=3
	s_delay_alu instid0(VALU_DEP_1)
	v_bfe_u32 v44, v4, 23, 1
; %bb.520:                              ;   in Loop: Header=BB2_323 Depth=3
	s_or_b32 exec_lo, exec_lo, s8
	s_delay_alu instid0(VALU_DEP_2) | instskip(NEXT) | instid1(VALU_DEP_2)
	v_lshrrev_b64 v[4:5], 20, v[4:5]
	v_cmp_gt_i32_e32 vcc_lo, 16, v44
	v_min_i32_e32 v45, 15, v44
	v_cmp_eq_u32_e64 s8, 0, v44
	s_delay_alu instid0(VALU_DEP_4) | instskip(NEXT) | instid1(VALU_DEP_3)
	v_cndmask_b32_e32 v5, 0, v5, vcc_lo
	v_dual_cndmask_b32 v4, 7, v4 :: v_dual_lshlrev_b32 v45, 3, v45
	s_delay_alu instid0(VALU_DEP_1) | instskip(NEXT) | instid1(VALU_DEP_2)
	v_and_b32_e32 v45, 0xf8, v45
	v_cmp_eq_u64_e32 vcc_lo, 0, v[4:5]
	s_delay_alu instid0(VALU_DEP_2)
	v_and_or_b32 v4, v4, 7, v45
	s_and_b32 s8, s8, vcc_lo
	s_delay_alu instid0(VALU_DEP_1) | instid1(SALU_CYCLE_1)
	v_cndmask_b32_e64 v4, v4, 0, s8
	s_delay_alu instid0(VALU_DEP_1)
	v_or_b32_e32 v75, v4, v46
.LBB2_521:                              ;   in Loop: Header=BB2_323 Depth=3
	s_or_b32 exec_lo, exec_lo, s21
                                        ; implicit-def: $vgpr46
.LBB2_522:                              ;   in Loop: Header=BB2_323 Depth=3
	s_and_not1_saveexec_b32 s8, s20
; %bb.523:                              ;   in Loop: Header=BB2_323 Depth=3
	v_or_b32_e32 v75, 0x7e, v46
; %bb.524:                              ;   in Loop: Header=BB2_323 Depth=3
	s_or_b32 exec_lo, exec_lo, s8
                                        ; implicit-def: $vgpr5
.LBB2_525:                              ;   in Loop: Header=BB2_323 Depth=3
	s_and_not1_saveexec_b32 s8, s19
; %bb.526:                              ;   in Loop: Header=BB2_323 Depth=3
	v_or_b32_e32 v75, 0x7f, v5
; %bb.527:                              ;   in Loop: Header=BB2_323 Depth=3
	s_or_b32 exec_lo, exec_lo, s8
	s_wait_loadcnt 0x0
	v_and_b32_e32 v4, 0xff, v16
	v_dual_mov_b32 v44, 0 :: v_dual_mov_b32 v45, 0
	s_mov_b32 s8, exec_lo
	s_delay_alu instid0(VALU_DEP_2)
	v_cmpx_ne_u16_e32 0, v4
	s_cbranch_execz .LBB2_533
; %bb.528:                              ;   in Loop: Header=BB2_323 Depth=3
	v_bfrev_b32_e32 v45, 1
	s_mov_b32 s19, exec_lo
	v_cmpx_ne_u16_e32 0x80, v4
	s_cbranch_execz .LBB2_532
; %bb.529:                              ;   in Loop: Header=BB2_323 Depth=3
	v_and_b32_e32 v4, 0x7f, v16
	v_mov_b32_e32 v45, 0x7f800001
	s_mov_b32 s20, exec_lo
	s_delay_alu instid0(VALU_DEP_2)
	v_cmpx_ne_u32_e32 0x7f, v4
	s_cbranch_execz .LBB2_531
; %bb.530:                              ;   in Loop: Header=BB2_323 Depth=3
	v_cmp_gt_u32_e32 vcc_lo, 8, v4
	v_and_b32_e32 v5, 7, v16
	s_delay_alu instid0(VALU_DEP_1) | instskip(NEXT) | instid1(VALU_DEP_1)
	v_clz_i32_u32_e32 v5, v5
	v_min_u32_e32 v5, 32, v5
	v_lshrrev_b32_e32 v45, 3, v4
	s_delay_alu instid0(VALU_DEP_2) | instskip(NEXT) | instid1(VALU_DEP_1)
	v_subrev_nc_u32_e32 v46, 28, v5
	v_dual_cndmask_b32 v4, 0, v46 :: v_dual_sub_nc_u32 v5, 29, v5
	s_delay_alu instid0(VALU_DEP_1) | instskip(NEXT) | instid1(VALU_DEP_2)
	v_cndmask_b32_e32 v45, v45, v5, vcc_lo
	v_lshlrev_b64_e32 v[4:5], v4, v[16:17]
	v_lshlrev_b32_e32 v5, 24, v16
	s_delay_alu instid0(VALU_DEP_3) | instskip(NEXT) | instid1(VALU_DEP_2)
	v_lshl_add_u32 v17, v45, 23, 0x3c000000
	v_and_b32_e32 v5, 0x80000000, v5
	s_delay_alu instid0(VALU_DEP_4) | instskip(NEXT) | instid1(VALU_DEP_1)
	v_lshlrev_b32_e32 v4, 20, v4
	v_and_b32_e32 v4, 0x700000, v4
	s_delay_alu instid0(VALU_DEP_1)
	v_or3_b32 v45, v4, v5, v17
.LBB2_531:                              ;   in Loop: Header=BB2_323 Depth=3
	s_or_b32 exec_lo, exec_lo, s20
.LBB2_532:                              ;   in Loop: Header=BB2_323 Depth=3
	s_delay_alu instid0(SALU_CYCLE_1)
	s_or_b32 exec_lo, exec_lo, s19
.LBB2_533:                              ;   in Loop: Header=BB2_323 Depth=3
	s_delay_alu instid0(SALU_CYCLE_1) | instskip(SKIP_4) | instid1(VALU_DEP_2)
	s_or_b32 exec_lo, exec_lo, s8
	v_lshl_or_b32 v17, v72, 8, v2
	v_dual_lshlrev_b32 v4, 16, v76 :: v_dual_lshlrev_b32 v46, 24, v77
	v_mov_b32_e32 v5, v65
	s_mov_b32 s8, exec_lo
	v_or3_b32 v4, v4, v46, v17
	v_cmpx_ne_u32_e32 0, v2
	s_cbranch_execz .LBB2_539
; %bb.534:                              ;   in Loop: Header=BB2_323 Depth=3
	v_bfrev_b32_e32 v44, 1
	s_mov_b32 s19, exec_lo
	v_cmpx_ne_u32_e32 0x80, v2
	s_cbranch_execz .LBB2_538
; %bb.535:                              ;   in Loop: Header=BB2_323 Depth=3
	v_and_b32_e32 v46, 0x7f, v2
	v_mov_b32_e32 v44, 0x7f800001
	s_mov_b32 s20, exec_lo
	s_delay_alu instid0(VALU_DEP_2)
	v_cmpx_ne_u32_e32 0x7f, v46
	s_cbranch_execz .LBB2_537
; %bb.536:                              ;   in Loop: Header=BB2_323 Depth=3
	v_cmp_gt_u32_e32 vcc_lo, 8, v46
	v_and_b32_e32 v2, 7, v2
	v_lshrrev_b32_e32 v44, 3, v46
	s_delay_alu instid0(VALU_DEP_2) | instskip(NEXT) | instid1(VALU_DEP_1)
	v_clz_i32_u32_e32 v2, v2
	v_min_u32_e32 v2, 32, v2
	s_delay_alu instid0(VALU_DEP_1) | instskip(SKIP_1) | instid1(VALU_DEP_1)
	v_subrev_nc_u32_e32 v47, 28, v2
	v_sub_nc_u32_e32 v2, 29, v2
	v_dual_cndmask_b32 v2, v44, v2, vcc_lo :: v_dual_cndmask_b32 v44, 0, v47, vcc_lo
	s_delay_alu instid0(VALU_DEP_1) | instskip(NEXT) | instid1(VALU_DEP_2)
	v_lshl_add_u32 v2, v2, 23, 0x3c000000
	v_lshlrev_b64_e32 v[46:47], v44, v[4:5]
	v_lshlrev_b32_e32 v5, 24, v4
	s_delay_alu instid0(VALU_DEP_1) | instskip(NEXT) | instid1(VALU_DEP_3)
	v_and_b32_e32 v5, 0x80000000, v5
	v_lshlrev_b32_e32 v44, 20, v46
	s_delay_alu instid0(VALU_DEP_1) | instskip(NEXT) | instid1(VALU_DEP_1)
	v_and_b32_e32 v44, 0x700000, v44
	v_or3_b32 v44, v44, v5, v2
.LBB2_537:                              ;   in Loop: Header=BB2_323 Depth=3
	s_or_b32 exec_lo, exec_lo, s20
.LBB2_538:                              ;   in Loop: Header=BB2_323 Depth=3
	s_delay_alu instid0(SALU_CYCLE_1)
	s_or_b32 exec_lo, exec_lo, s19
.LBB2_539:                              ;   in Loop: Header=BB2_323 Depth=3
	s_delay_alu instid0(SALU_CYCLE_1) | instskip(NEXT) | instid1(VALU_DEP_1)
	s_or_b32 exec_lo, exec_lo, s8
	v_add_f32_e32 v44, v45, v44
	v_mov_b32_e32 v47, v65
                                        ; implicit-def: $vgpr2
	s_mov_b32 s8, exec_lo
	s_delay_alu instid0(VALU_DEP_2) | instskip(SKIP_1) | instid1(VALU_DEP_2)
	v_and_b32_e32 v46, 0x7f800000, v44
	v_lshrrev_b32_e32 v5, 24, v44
	v_cmpx_ne_u64_e32 0x7f800000, v[46:47]
	s_xor_b32 s19, exec_lo, s8
	s_cbranch_execz .LBB2_553
; %bb.540:                              ;   in Loop: Header=BB2_323 Depth=3
	v_and_b32_e32 v46, 0x7fffffff, v44
	v_mov_b32_e32 v47, v65
	v_and_b32_e32 v5, 0x80, v5
                                        ; implicit-def: $vgpr2
	s_mov_b32 s8, exec_lo
	s_delay_alu instid0(VALU_DEP_2)
	v_cmpx_gt_u64_e32 0x43e00001, v[46:47]
	s_xor_b32 s20, exec_lo, s8
	s_cbranch_execz .LBB2_550
; %bb.541:                              ;   in Loop: Header=BB2_323 Depth=3
	v_mov_b32_e32 v2, 0
	s_mov_b32 s21, exec_lo
	v_cmpx_ne_u32_e32 0, v44
	s_cbranch_execz .LBB2_549
; %bb.542:                              ;   in Loop: Header=BB2_323 Depth=3
	v_bfe_u32 v2, v44, 23, 8
	v_and_b32_e32 v46, 0x7fffff, v44
	s_mov_b32 s22, exec_lo
	s_delay_alu instid0(VALU_DEP_2) | instskip(SKIP_1) | instid1(VALU_DEP_3)
	v_sub_nc_u32_e32 v45, 0x79, v2
	v_cmp_gt_u32_e32 vcc_lo, 0x7a, v2
	v_or_b32_e32 v47, 0x800000, v46
	s_delay_alu instid0(VALU_DEP_3) | instskip(SKIP_1) | instid1(VALU_DEP_2)
	v_cndmask_b32_e32 v45, 0, v45, vcc_lo
	v_cmp_eq_u32_e32 vcc_lo, 0, v2
	v_cndmask_b32_e64 v72, v45, 0x78, vcc_lo
	s_delay_alu instid0(VALU_DEP_4) | instskip(NEXT) | instid1(VALU_DEP_2)
	v_dual_cndmask_b32 v46, v47, v46 :: v_dual_mov_b32 v47, v65
	v_dual_add_nc_u32 v44, 20, v72 :: v_dual_add_nc_u32 v76, 19, v72
	s_delay_alu instid0(VALU_DEP_1) | instskip(NEXT) | instid1(VALU_DEP_2)
	v_lshlrev_b64_e64 v[44:45], v44, -1
	v_lshlrev_b64_e64 v[76:77], v76, 1
	s_delay_alu instid0(VALU_DEP_2) | instskip(NEXT) | instid1(VALU_DEP_3)
	v_bfi_b32 v79, v45, 0, 0
	v_bfi_b32 v78, v44, 0, v46
	v_lshrrev_b64 v[44:45], v72, v[46:47]
	s_delay_alu instid0(VALU_DEP_1) | instskip(NEXT) | instid1(VALU_DEP_3)
	v_mov_b64_e32 v[46:47], v[44:45]
	v_cmpx_eq_u64_e64 v[78:79], v[76:77]
; %bb.543:                              ;   in Loop: Header=BB2_323 Depth=3
	v_bfe_u32 v46, v44, 20, 1
	v_mov_b32_e32 v47, v65
	s_delay_alu instid0(VALU_DEP_1) | instskip(NEXT) | instid1(VALU_DEP_1)
	v_add_nc_u64_e32 v[46:47], v[44:45], v[46:47]
	v_add_nc_u64_e32 v[46:47], -1, v[46:47]
; %bb.544:                              ;   in Loop: Header=BB2_323 Depth=3
	s_or_b32 exec_lo, exec_lo, s22
	v_add_nc_u32_e32 v2, 0xffffff81, v2
	v_lshrrev_b32_e32 v45, 23, v44
	s_mov_b32 s8, exec_lo
	s_delay_alu instid0(VALU_DEP_2) | instskip(NEXT) | instid1(VALU_DEP_1)
	v_cndmask_b32_e64 v2, v2, 0xffffff82, vcc_lo
	v_add3_u32 v47, v72, v2, v45
	v_and_b32_e32 v2, 0xfffff, v46
	s_delay_alu instid0(VALU_DEP_2) | instskip(NEXT) | instid1(VALU_DEP_2)
	v_dual_mov_b32 v45, v65 :: v_dual_add_nc_u32 v46, 6, v47
	v_add_nc_u32_e32 v44, v2, v44
                                        ; implicit-def: $vgpr2
	s_delay_alu instid0(VALU_DEP_2)
	v_cmpx_ne_u32_e32 0, v46
	s_xor_b32 s8, exec_lo, s8
; %bb.545:                              ;   in Loop: Header=BB2_323 Depth=3
	s_delay_alu instid0(VALU_DEP_2) | instskip(SKIP_1) | instid1(VALU_DEP_1)
	v_cmp_lt_u64_e32 vcc_lo, 0xffffff, v[44:45]
	v_add_nc_u32_e32 v2, 7, v47
	v_cndmask_b32_e32 v2, v46, v2, vcc_lo
	v_cndmask_b32_e64 v46, 0, 1, vcc_lo
	s_delay_alu instid0(VALU_DEP_1)
	v_lshrrev_b64 v[44:45], v46, v[44:45]
; %bb.546:                              ;   in Loop: Header=BB2_323 Depth=3
	s_and_not1_saveexec_b32 s8, s8
; %bb.547:                              ;   in Loop: Header=BB2_323 Depth=3
	s_delay_alu instid0(VALU_DEP_1)
	v_bfe_u32 v2, v44, 23, 1
; %bb.548:                              ;   in Loop: Header=BB2_323 Depth=3
	s_or_b32 exec_lo, exec_lo, s8
	s_delay_alu instid0(VALU_DEP_2) | instskip(NEXT) | instid1(VALU_DEP_2)
	v_lshrrev_b64 v[44:45], 20, v[44:45]
	v_cmp_gt_i32_e32 vcc_lo, 16, v2
	v_min_i32_e32 v46, 15, v2
	v_cmp_eq_u32_e64 s8, 0, v2
	s_delay_alu instid0(VALU_DEP_2) | instskip(SKIP_1) | instid1(VALU_DEP_2)
	v_dual_cndmask_b32 v45, 0, v45 :: v_dual_lshlrev_b32 v46, 3, v46
	v_cndmask_b32_e32 v44, 7, v44, vcc_lo
	v_and_b32_e32 v46, 0xf8, v46
	s_delay_alu instid0(VALU_DEP_2) | instskip(NEXT) | instid1(VALU_DEP_2)
	v_cmp_eq_u64_e32 vcc_lo, 0, v[44:45]
	v_and_or_b32 v2, v44, 7, v46
	s_and_b32 s8, s8, vcc_lo
	s_delay_alu instid0(VALU_DEP_1) | instid1(SALU_CYCLE_1)
	v_cndmask_b32_e64 v2, v2, 0, s8
	s_delay_alu instid0(VALU_DEP_1)
	v_or_b32_e32 v2, v2, v5
.LBB2_549:                              ;   in Loop: Header=BB2_323 Depth=3
	s_or_b32 exec_lo, exec_lo, s21
                                        ; implicit-def: $vgpr5
.LBB2_550:                              ;   in Loop: Header=BB2_323 Depth=3
	s_and_not1_saveexec_b32 s8, s20
; %bb.551:                              ;   in Loop: Header=BB2_323 Depth=3
	v_or_b32_e32 v2, 0x7e, v5
; %bb.552:                              ;   in Loop: Header=BB2_323 Depth=3
	s_or_b32 exec_lo, exec_lo, s8
                                        ; implicit-def: $vgpr5
.LBB2_553:                              ;   in Loop: Header=BB2_323 Depth=3
	s_and_not1_saveexec_b32 s8, s19
; %bb.554:                              ;   in Loop: Header=BB2_323 Depth=3
	v_or_b32_e32 v2, 0x7f, v5
; %bb.555:                              ;   in Loop: Header=BB2_323 Depth=3
	s_or_b32 exec_lo, exec_lo, s8
	v_lshrrev_b16 v44, 8, v16
	v_dual_mov_b32 v5, 0 :: v_dual_mov_b32 v46, 0
	s_mov_b32 s8, exec_lo
	s_delay_alu instid0(VALU_DEP_2)
	v_cmpx_ne_u16_e32 0, v44
	s_cbranch_execz .LBB2_563
; %bb.556:                              ;   in Loop: Header=BB2_323 Depth=3
	v_bfrev_b32_e32 v46, 1
	s_mov_b32 s19, exec_lo
	v_cmpx_ne_u16_e32 0x80, v44
	s_cbranch_execz .LBB2_562
; %bb.557:                              ;   in Loop: Header=BB2_323 Depth=3
	v_and_b32_e32 v44, 0xffff, v44
	v_mov_b32_e32 v46, 0x7f800001
	s_mov_b32 s20, exec_lo
	s_delay_alu instid0(VALU_DEP_2) | instskip(NEXT) | instid1(VALU_DEP_1)
	v_and_b32_e32 v47, 0x7f, v44
	v_cmpx_ne_u32_e32 0x7f, v47
	s_cbranch_execz .LBB2_561
; %bb.558:                              ;   in Loop: Header=BB2_323 Depth=3
	v_dual_mov_b32 v45, v65 :: v_dual_bitop2_b32 v44, 7, v44 bitop3:0x40
	v_lshrrev_b32_e32 v46, 3, v47
	s_mov_b32 s21, exec_lo
	v_cmpx_gt_u32_e32 8, v47
; %bb.559:                              ;   in Loop: Header=BB2_323 Depth=3
	s_delay_alu instid0(VALU_DEP_3) | instskip(NEXT) | instid1(VALU_DEP_1)
	v_clz_i32_u32_e32 v46, v44
	v_min_u32_e32 v46, 32, v46
	s_delay_alu instid0(VALU_DEP_1) | instskip(NEXT) | instid1(VALU_DEP_1)
	v_subrev_nc_u32_e32 v47, 28, v46
	v_lshlrev_b64_e32 v[44:45], v47, v[44:45]
	s_delay_alu instid0(VALU_DEP_1)
	v_dual_sub_nc_u32 v46, 29, v46 :: v_dual_bitop2_b32 v44, 7, v44 bitop3:0x40
; %bb.560:                              ;   in Loop: Header=BB2_323 Depth=3
	s_or_b32 exec_lo, exec_lo, s21
	v_lshlrev_b32_e32 v45, 16, v16
	s_delay_alu instid0(VALU_DEP_2) | instskip(NEXT) | instid1(VALU_DEP_3)
	v_lshlrev_b32_e32 v44, 20, v44
	v_lshl_add_u32 v46, v46, 23, 0x3c000000
	s_delay_alu instid0(VALU_DEP_3) | instskip(NEXT) | instid1(VALU_DEP_1)
	v_and_b32_e32 v45, 0x80000000, v45
	v_or3_b32 v46, v44, v45, v46
.LBB2_561:                              ;   in Loop: Header=BB2_323 Depth=3
	s_or_b32 exec_lo, exec_lo, s20
.LBB2_562:                              ;   in Loop: Header=BB2_323 Depth=3
	s_delay_alu instid0(SALU_CYCLE_1)
	s_or_b32 exec_lo, exec_lo, s19
.LBB2_563:                              ;   in Loop: Header=BB2_323 Depth=3
	s_delay_alu instid0(SALU_CYCLE_1) | instskip(SKIP_2) | instid1(VALU_DEP_1)
	s_or_b32 exec_lo, exec_lo, s8
	v_lshrrev_b16 v44, 8, v17
	s_mov_b32 s8, exec_lo
	v_cmpx_ne_u16_e32 0, v44
	s_cbranch_execz .LBB2_571
; %bb.564:                              ;   in Loop: Header=BB2_323 Depth=3
	v_bfrev_b32_e32 v5, 1
	s_mov_b32 s19, exec_lo
	v_cmpx_ne_u16_e32 0x80, v44
	s_cbranch_execz .LBB2_570
; %bb.565:                              ;   in Loop: Header=BB2_323 Depth=3
	v_and_b32_e32 v44, 0xffff, v44
	v_mov_b32_e32 v5, 0x7f800001
	s_mov_b32 s20, exec_lo
	s_delay_alu instid0(VALU_DEP_2) | instskip(NEXT) | instid1(VALU_DEP_1)
	v_and_b32_e32 v47, 0x7f, v44
	v_cmpx_ne_u32_e32 0x7f, v47
	s_cbranch_execz .LBB2_569
; %bb.566:                              ;   in Loop: Header=BB2_323 Depth=3
	v_dual_mov_b32 v45, v65 :: v_dual_bitop2_b32 v44, 7, v44 bitop3:0x40
	v_lshrrev_b32_e32 v5, 3, v47
	s_mov_b32 s21, exec_lo
	v_cmpx_gt_u32_e32 8, v47
; %bb.567:                              ;   in Loop: Header=BB2_323 Depth=3
	s_delay_alu instid0(VALU_DEP_3) | instskip(NEXT) | instid1(VALU_DEP_1)
	v_clz_i32_u32_e32 v5, v44
	v_min_u32_e32 v5, 32, v5
	s_delay_alu instid0(VALU_DEP_1) | instskip(NEXT) | instid1(VALU_DEP_1)
	v_subrev_nc_u32_e32 v47, 28, v5
	v_lshlrev_b64_e32 v[44:45], v47, v[44:45]
	s_delay_alu instid0(VALU_DEP_1)
	v_dual_sub_nc_u32 v5, 29, v5 :: v_dual_bitop2_b32 v44, 7, v44 bitop3:0x40
; %bb.568:                              ;   in Loop: Header=BB2_323 Depth=3
	s_or_b32 exec_lo, exec_lo, s21
	s_delay_alu instid0(VALU_DEP_1) | instskip(NEXT) | instid1(VALU_DEP_2)
	v_dual_lshlrev_b32 v17, 16, v17 :: v_dual_lshlrev_b32 v44, 20, v44
	v_lshl_add_u32 v5, v5, 23, 0x3c000000
	s_delay_alu instid0(VALU_DEP_2) | instskip(NEXT) | instid1(VALU_DEP_1)
	v_and_b32_e32 v17, 0x80000000, v17
	v_or3_b32 v5, v44, v17, v5
.LBB2_569:                              ;   in Loop: Header=BB2_323 Depth=3
	s_or_b32 exec_lo, exec_lo, s20
.LBB2_570:                              ;   in Loop: Header=BB2_323 Depth=3
	s_delay_alu instid0(SALU_CYCLE_1)
	s_or_b32 exec_lo, exec_lo, s19
.LBB2_571:                              ;   in Loop: Header=BB2_323 Depth=3
	s_delay_alu instid0(SALU_CYCLE_1) | instskip(NEXT) | instid1(VALU_DEP_1)
	s_or_b32 exec_lo, exec_lo, s8
	v_dual_add_f32 v17, v46, v5 :: v_dual_mov_b32 v45, v65
                                        ; implicit-def: $vgpr72
	s_mov_b32 s8, exec_lo
	s_delay_alu instid0(VALU_DEP_1) | instskip(SKIP_1) | instid1(VALU_DEP_2)
	v_and_b32_e32 v44, 0x7f800000, v17
	v_lshrrev_b32_e32 v5, 24, v17
	v_cmpx_ne_u64_e32 0x7f800000, v[44:45]
	s_xor_b32 s19, exec_lo, s8
	s_cbranch_execz .LBB2_585
; %bb.572:                              ;   in Loop: Header=BB2_323 Depth=3
	v_and_b32_e32 v44, 0x7fffffff, v17
	v_mov_b32_e32 v45, v65
	v_and_b32_e32 v5, 0x80, v5
                                        ; implicit-def: $vgpr72
	s_mov_b32 s8, exec_lo
	s_delay_alu instid0(VALU_DEP_2)
	v_cmpx_gt_u64_e32 0x43e00001, v[44:45]
	s_xor_b32 s20, exec_lo, s8
	s_cbranch_execz .LBB2_582
; %bb.573:                              ;   in Loop: Header=BB2_323 Depth=3
	v_mov_b32_e32 v72, 0
	s_mov_b32 s21, exec_lo
	v_cmpx_ne_u32_e32 0, v17
	s_cbranch_execz .LBB2_581
; %bb.574:                              ;   in Loop: Header=BB2_323 Depth=3
	v_bfe_u32 v72, v17, 23, 8
	v_and_b32_e32 v17, 0x7fffff, v17
	s_mov_b32 s22, exec_lo
	s_delay_alu instid0(VALU_DEP_2) | instskip(SKIP_1) | instid1(VALU_DEP_3)
	v_dual_mov_b32 v47, v65 :: v_dual_sub_nc_u32 v44, 0x79, v72
	v_cmp_gt_u32_e32 vcc_lo, 0x7a, v72
	v_or_b32_e32 v46, 0x800000, v17
	s_delay_alu instid0(VALU_DEP_3) | instskip(SKIP_1) | instid1(VALU_DEP_3)
	v_cndmask_b32_e32 v44, 0, v44, vcc_lo
	v_cmp_eq_u32_e32 vcc_lo, 0, v72
	v_cndmask_b32_e32 v46, v46, v17, vcc_lo
	s_delay_alu instid0(VALU_DEP_3) | instskip(NEXT) | instid1(VALU_DEP_1)
	v_cndmask_b32_e64 v76, v44, 0x78, vcc_lo
	v_dual_add_nc_u32 v44, 20, v76 :: v_dual_add_nc_u32 v77, 19, v76
	s_delay_alu instid0(VALU_DEP_1) | instskip(NEXT) | instid1(VALU_DEP_2)
	v_lshlrev_b64_e64 v[44:45], v44, -1
	v_lshlrev_b64_e64 v[78:79], v77, 1
	s_delay_alu instid0(VALU_DEP_2) | instskip(NEXT) | instid1(VALU_DEP_3)
	v_bfi_b32 v89, v45, 0, 0
	v_bfi_b32 v88, v44, 0, v46
	v_lshrrev_b64 v[44:45], v76, v[46:47]
	s_delay_alu instid0(VALU_DEP_1) | instskip(NEXT) | instid1(VALU_DEP_3)
	v_mov_b64_e32 v[46:47], v[44:45]
	v_cmpx_eq_u64_e64 v[88:89], v[78:79]
; %bb.575:                              ;   in Loop: Header=BB2_323 Depth=3
	v_bfe_u32 v46, v44, 20, 1
	v_mov_b32_e32 v47, v65
	s_delay_alu instid0(VALU_DEP_1) | instskip(NEXT) | instid1(VALU_DEP_1)
	v_add_nc_u64_e32 v[46:47], v[44:45], v[46:47]
	v_add_nc_u64_e32 v[46:47], -1, v[46:47]
; %bb.576:                              ;   in Loop: Header=BB2_323 Depth=3
	s_or_b32 exec_lo, exec_lo, s22
	v_add_nc_u32_e32 v17, 0xffffff81, v72
	v_lshrrev_b32_e32 v45, 23, v44
	s_mov_b32 s8, exec_lo
	s_delay_alu instid0(VALU_DEP_2) | instskip(NEXT) | instid1(VALU_DEP_1)
	v_cndmask_b32_e64 v17, v17, 0xffffff82, vcc_lo
	v_add3_u32 v47, v76, v17, v45
	v_and_b32_e32 v17, 0xfffff, v46
	s_delay_alu instid0(VALU_DEP_2) | instskip(NEXT) | instid1(VALU_DEP_2)
	v_dual_mov_b32 v45, v65 :: v_dual_add_nc_u32 v46, 6, v47
	v_add_nc_u32_e32 v44, v17, v44
                                        ; implicit-def: $vgpr17
	s_delay_alu instid0(VALU_DEP_2)
	v_cmpx_ne_u32_e32 0, v46
	s_xor_b32 s8, exec_lo, s8
; %bb.577:                              ;   in Loop: Header=BB2_323 Depth=3
	s_delay_alu instid0(VALU_DEP_2) | instskip(SKIP_1) | instid1(VALU_DEP_1)
	v_cmp_lt_u64_e32 vcc_lo, 0xffffff, v[44:45]
	v_add_nc_u32_e32 v17, 7, v47
	v_cndmask_b32_e32 v17, v46, v17, vcc_lo
	v_cndmask_b32_e64 v46, 0, 1, vcc_lo
	s_delay_alu instid0(VALU_DEP_1)
	v_lshrrev_b64 v[44:45], v46, v[44:45]
; %bb.578:                              ;   in Loop: Header=BB2_323 Depth=3
	s_and_not1_saveexec_b32 s8, s8
; %bb.579:                              ;   in Loop: Header=BB2_323 Depth=3
	s_delay_alu instid0(VALU_DEP_1)
	v_bfe_u32 v17, v44, 23, 1
; %bb.580:                              ;   in Loop: Header=BB2_323 Depth=3
	s_or_b32 exec_lo, exec_lo, s8
	s_delay_alu instid0(VALU_DEP_2) | instskip(NEXT) | instid1(VALU_DEP_2)
	v_lshrrev_b64 v[44:45], 20, v[44:45]
	v_cmp_gt_i32_e32 vcc_lo, 16, v17
	v_min_i32_e32 v46, 15, v17
	v_cmp_eq_u32_e64 s8, 0, v17
	s_delay_alu instid0(VALU_DEP_2) | instskip(SKIP_1) | instid1(VALU_DEP_2)
	v_dual_cndmask_b32 v44, 7, v44, vcc_lo :: v_dual_lshlrev_b32 v46, 3, v46
	v_cndmask_b32_e32 v45, 0, v45, vcc_lo
	v_and_b32_e32 v46, 0xf8, v46
	s_delay_alu instid0(VALU_DEP_2) | instskip(NEXT) | instid1(VALU_DEP_2)
	v_cmp_eq_u64_e32 vcc_lo, 0, v[44:45]
	v_and_or_b32 v17, v44, 7, v46
	s_and_b32 s8, s8, vcc_lo
	s_delay_alu instid0(VALU_DEP_1) | instid1(SALU_CYCLE_1)
	v_cndmask_b32_e64 v17, v17, 0, s8
	s_delay_alu instid0(VALU_DEP_1)
	v_or_b32_e32 v72, v17, v5
.LBB2_581:                              ;   in Loop: Header=BB2_323 Depth=3
	s_or_b32 exec_lo, exec_lo, s21
                                        ; implicit-def: $vgpr5
.LBB2_582:                              ;   in Loop: Header=BB2_323 Depth=3
	s_and_not1_saveexec_b32 s8, s20
; %bb.583:                              ;   in Loop: Header=BB2_323 Depth=3
	v_or_b32_e32 v72, 0x7e, v5
; %bb.584:                              ;   in Loop: Header=BB2_323 Depth=3
	s_or_b32 exec_lo, exec_lo, s8
                                        ; implicit-def: $vgpr5
.LBB2_585:                              ;   in Loop: Header=BB2_323 Depth=3
	s_and_not1_saveexec_b32 s8, s19
; %bb.586:                              ;   in Loop: Header=BB2_323 Depth=3
	v_or_b32_e32 v72, 0x7f, v5
; %bb.587:                              ;   in Loop: Header=BB2_323 Depth=3
	s_or_b32 exec_lo, exec_lo, s8
	v_dual_mov_b32 v5, 0 :: v_dual_lshrrev_b32 v46, 16, v16
	v_mov_b32_e32 v17, 0
	s_mov_b32 s8, exec_lo
	s_delay_alu instid0(VALU_DEP_2) | instskip(NEXT) | instid1(VALU_DEP_1)
	v_and_b32_e32 v44, 0xff, v46
	v_cmpx_ne_u16_e32 0, v44
	s_cbranch_execz .LBB2_595
; %bb.588:                              ;   in Loop: Header=BB2_323 Depth=3
	v_bfrev_b32_e32 v17, 1
	s_mov_b32 s19, exec_lo
	v_cmpx_ne_u16_e32 0x80, v44
	s_cbranch_execz .LBB2_594
; %bb.589:                              ;   in Loop: Header=BB2_323 Depth=3
	v_bfe_u32 v47, v16, 16, 7
	v_mov_b32_e32 v17, 0x7f800001
	s_mov_b32 s20, exec_lo
	s_delay_alu instid0(VALU_DEP_2)
	v_cmpx_ne_u32_e32 0x7f, v47
	s_cbranch_execz .LBB2_593
; %bb.590:                              ;   in Loop: Header=BB2_323 Depth=3
	v_dual_mov_b32 v45, v65 :: v_dual_bitop2_b32 v44, 7, v46 bitop3:0x40
	v_lshrrev_b32_e32 v17, 3, v47
	s_mov_b32 s21, exec_lo
	v_cmpx_gt_u32_e32 8, v47
; %bb.591:                              ;   in Loop: Header=BB2_323 Depth=3
	s_delay_alu instid0(VALU_DEP_3) | instskip(NEXT) | instid1(VALU_DEP_1)
	v_clz_i32_u32_e32 v17, v44
	v_min_u32_e32 v17, 32, v17
	s_delay_alu instid0(VALU_DEP_1) | instskip(NEXT) | instid1(VALU_DEP_1)
	v_subrev_nc_u32_e32 v47, 28, v17
	v_lshlrev_b64_e32 v[44:45], v47, v[44:45]
	s_delay_alu instid0(VALU_DEP_1)
	v_dual_sub_nc_u32 v17, 29, v17 :: v_dual_bitop2_b32 v44, 7, v44 bitop3:0x40
; %bb.592:                              ;   in Loop: Header=BB2_323 Depth=3
	s_or_b32 exec_lo, exec_lo, s21
	s_delay_alu instid0(VALU_DEP_1) | instskip(NEXT) | instid1(VALU_DEP_2)
	v_dual_lshlrev_b32 v45, 24, v46 :: v_dual_lshlrev_b32 v44, 20, v44
	v_lshl_add_u32 v17, v17, 23, 0x3c000000
	s_delay_alu instid0(VALU_DEP_2) | instskip(NEXT) | instid1(VALU_DEP_1)
	v_and_b32_e32 v45, 0x80000000, v45
	v_or3_b32 v17, v44, v45, v17
.LBB2_593:                              ;   in Loop: Header=BB2_323 Depth=3
	s_or_b32 exec_lo, exec_lo, s20
.LBB2_594:                              ;   in Loop: Header=BB2_323 Depth=3
	s_delay_alu instid0(SALU_CYCLE_1)
	s_or_b32 exec_lo, exec_lo, s19
.LBB2_595:                              ;   in Loop: Header=BB2_323 Depth=3
	s_delay_alu instid0(SALU_CYCLE_1) | instskip(SKIP_2) | instid1(VALU_DEP_1)
	s_or_b32 exec_lo, exec_lo, s8
	v_lshrrev_b32_e32 v44, 16, v4
	s_mov_b32 s8, exec_lo
	v_and_b32_e32 v45, 0xff, v44
	s_delay_alu instid0(VALU_DEP_1)
	v_cmpx_ne_u16_e32 0, v45
	s_cbranch_execz .LBB2_603
; %bb.596:                              ;   in Loop: Header=BB2_323 Depth=3
	v_bfrev_b32_e32 v5, 1
	s_mov_b32 s19, exec_lo
	v_cmpx_ne_u16_e32 0x80, v45
	s_cbranch_execz .LBB2_602
; %bb.597:                              ;   in Loop: Header=BB2_323 Depth=3
	v_bfe_u32 v46, v4, 16, 7
	v_mov_b32_e32 v5, 0x7f800001
	s_mov_b32 s20, exec_lo
	s_delay_alu instid0(VALU_DEP_2)
	v_cmpx_ne_u32_e32 0x7f, v46
	s_cbranch_execz .LBB2_601
; %bb.598:                              ;   in Loop: Header=BB2_323 Depth=3
	v_dual_mov_b32 v45, v65 :: v_dual_bitop2_b32 v44, 7, v44 bitop3:0x40
	v_lshrrev_b32_e32 v5, 3, v46
	s_mov_b32 s21, exec_lo
	v_cmpx_gt_u32_e32 8, v46
; %bb.599:                              ;   in Loop: Header=BB2_323 Depth=3
	s_delay_alu instid0(VALU_DEP_3) | instskip(NEXT) | instid1(VALU_DEP_1)
	v_clz_i32_u32_e32 v5, v44
	v_min_u32_e32 v5, 32, v5
	s_delay_alu instid0(VALU_DEP_1) | instskip(NEXT) | instid1(VALU_DEP_1)
	v_subrev_nc_u32_e32 v46, 28, v5
	v_lshlrev_b64_e32 v[44:45], v46, v[44:45]
	s_delay_alu instid0(VALU_DEP_1)
	v_dual_sub_nc_u32 v5, 29, v5 :: v_dual_bitop2_b32 v44, 7, v44 bitop3:0x40
; %bb.600:                              ;   in Loop: Header=BB2_323 Depth=3
	s_or_b32 exec_lo, exec_lo, s21
	v_lshlrev_b32_e32 v45, 8, v4
	s_delay_alu instid0(VALU_DEP_2) | instskip(NEXT) | instid1(VALU_DEP_3)
	v_lshlrev_b32_e32 v44, 20, v44
	v_lshl_add_u32 v5, v5, 23, 0x3c000000
	s_delay_alu instid0(VALU_DEP_3) | instskip(NEXT) | instid1(VALU_DEP_1)
	v_and_b32_e32 v45, 0x80000000, v45
	v_or3_b32 v5, v44, v45, v5
.LBB2_601:                              ;   in Loop: Header=BB2_323 Depth=3
	s_or_b32 exec_lo, exec_lo, s20
.LBB2_602:                              ;   in Loop: Header=BB2_323 Depth=3
	s_delay_alu instid0(SALU_CYCLE_1)
	s_or_b32 exec_lo, exec_lo, s19
.LBB2_603:                              ;   in Loop: Header=BB2_323 Depth=3
	s_delay_alu instid0(SALU_CYCLE_1) | instskip(NEXT) | instid1(VALU_DEP_1)
	s_or_b32 exec_lo, exec_lo, s8
	v_add_f32_e32 v17, v17, v5
	v_mov_b32_e32 v45, v65
                                        ; implicit-def: $vgpr46
	s_mov_b32 s8, exec_lo
	s_delay_alu instid0(VALU_DEP_2) | instskip(SKIP_1) | instid1(VALU_DEP_2)
	v_and_b32_e32 v44, 0x7f800000, v17
	v_lshrrev_b32_e32 v5, 24, v17
	v_cmpx_ne_u64_e32 0x7f800000, v[44:45]
	s_xor_b32 s19, exec_lo, s8
	s_cbranch_execz .LBB2_617
; %bb.604:                              ;   in Loop: Header=BB2_323 Depth=3
	v_and_b32_e32 v44, 0x7fffffff, v17
	v_mov_b32_e32 v45, v65
	v_and_b32_e32 v5, 0x80, v5
                                        ; implicit-def: $vgpr46
	s_mov_b32 s8, exec_lo
	s_delay_alu instid0(VALU_DEP_2)
	v_cmpx_gt_u64_e32 0x43e00001, v[44:45]
	s_xor_b32 s20, exec_lo, s8
	s_cbranch_execz .LBB2_614
; %bb.605:                              ;   in Loop: Header=BB2_323 Depth=3
	v_mov_b32_e32 v46, 0
	s_mov_b32 s21, exec_lo
	v_cmpx_ne_u32_e32 0, v17
	s_cbranch_execz .LBB2_613
; %bb.606:                              ;   in Loop: Header=BB2_323 Depth=3
	v_bfe_u32 v76, v17, 23, 8
	v_and_b32_e32 v17, 0x7fffff, v17
	s_mov_b32 s22, exec_lo
	s_delay_alu instid0(VALU_DEP_2) | instskip(SKIP_1) | instid1(VALU_DEP_3)
	v_dual_mov_b32 v47, v65 :: v_dual_sub_nc_u32 v44, 0x79, v76
	v_cmp_gt_u32_e32 vcc_lo, 0x7a, v76
	v_or_b32_e32 v46, 0x800000, v17
	s_delay_alu instid0(VALU_DEP_3) | instskip(SKIP_1) | instid1(VALU_DEP_2)
	v_cndmask_b32_e32 v44, 0, v44, vcc_lo
	v_cmp_eq_u32_e32 vcc_lo, 0, v76
	v_cndmask_b32_e64 v77, v44, 0x78, vcc_lo
	s_delay_alu instid0(VALU_DEP_4) | instskip(NEXT) | instid1(VALU_DEP_2)
	v_cndmask_b32_e32 v46, v46, v17, vcc_lo
	v_dual_add_nc_u32 v44, 20, v77 :: v_dual_add_nc_u32 v78, 19, v77
	s_delay_alu instid0(VALU_DEP_1) | instskip(NEXT) | instid1(VALU_DEP_2)
	v_lshlrev_b64_e64 v[44:45], v44, -1
	v_lshlrev_b64_e64 v[78:79], v78, 1
	s_delay_alu instid0(VALU_DEP_2) | instskip(NEXT) | instid1(VALU_DEP_3)
	v_bfi_b32 v89, v45, 0, 0
	v_bfi_b32 v88, v44, 0, v46
	v_lshrrev_b64 v[44:45], v77, v[46:47]
	s_delay_alu instid0(VALU_DEP_1) | instskip(NEXT) | instid1(VALU_DEP_3)
	v_mov_b64_e32 v[46:47], v[44:45]
	v_cmpx_eq_u64_e64 v[88:89], v[78:79]
; %bb.607:                              ;   in Loop: Header=BB2_323 Depth=3
	v_bfe_u32 v46, v44, 20, 1
	v_mov_b32_e32 v47, v65
	s_delay_alu instid0(VALU_DEP_1) | instskip(NEXT) | instid1(VALU_DEP_1)
	v_add_nc_u64_e32 v[46:47], v[44:45], v[46:47]
	v_add_nc_u64_e32 v[46:47], -1, v[46:47]
; %bb.608:                              ;   in Loop: Header=BB2_323 Depth=3
	s_or_b32 exec_lo, exec_lo, s22
	v_add_nc_u32_e32 v17, 0xffffff81, v76
	v_lshrrev_b32_e32 v45, 23, v44
	s_mov_b32 s8, exec_lo
	s_delay_alu instid0(VALU_DEP_2) | instskip(NEXT) | instid1(VALU_DEP_1)
	v_cndmask_b32_e64 v17, v17, 0xffffff82, vcc_lo
	v_add3_u32 v47, v77, v17, v45
	v_and_b32_e32 v17, 0xfffff, v46
	s_delay_alu instid0(VALU_DEP_2) | instskip(NEXT) | instid1(VALU_DEP_2)
	v_dual_mov_b32 v45, v65 :: v_dual_add_nc_u32 v46, 6, v47
	v_add_nc_u32_e32 v44, v17, v44
                                        ; implicit-def: $vgpr17
	s_delay_alu instid0(VALU_DEP_2)
	v_cmpx_ne_u32_e32 0, v46
	s_xor_b32 s8, exec_lo, s8
; %bb.609:                              ;   in Loop: Header=BB2_323 Depth=3
	s_delay_alu instid0(VALU_DEP_2) | instskip(SKIP_1) | instid1(VALU_DEP_1)
	v_cmp_lt_u64_e32 vcc_lo, 0xffffff, v[44:45]
	v_add_nc_u32_e32 v17, 7, v47
	v_cndmask_b32_e32 v17, v46, v17, vcc_lo
	v_cndmask_b32_e64 v46, 0, 1, vcc_lo
	s_delay_alu instid0(VALU_DEP_1)
	v_lshrrev_b64 v[44:45], v46, v[44:45]
; %bb.610:                              ;   in Loop: Header=BB2_323 Depth=3
	s_and_not1_saveexec_b32 s8, s8
; %bb.611:                              ;   in Loop: Header=BB2_323 Depth=3
	s_delay_alu instid0(VALU_DEP_1)
	v_bfe_u32 v17, v44, 23, 1
; %bb.612:                              ;   in Loop: Header=BB2_323 Depth=3
	s_or_b32 exec_lo, exec_lo, s8
	s_delay_alu instid0(VALU_DEP_2) | instskip(NEXT) | instid1(VALU_DEP_2)
	v_lshrrev_b64 v[44:45], 20, v[44:45]
	v_cmp_gt_i32_e32 vcc_lo, 16, v17
	v_min_i32_e32 v46, 15, v17
	v_cmp_eq_u32_e64 s8, 0, v17
	s_delay_alu instid0(VALU_DEP_2) | instskip(SKIP_1) | instid1(VALU_DEP_2)
	v_dual_cndmask_b32 v44, 7, v44, vcc_lo :: v_dual_lshlrev_b32 v46, 3, v46
	v_cndmask_b32_e32 v45, 0, v45, vcc_lo
	v_and_b32_e32 v46, 0xf8, v46
	s_delay_alu instid0(VALU_DEP_2) | instskip(NEXT) | instid1(VALU_DEP_2)
	v_cmp_eq_u64_e32 vcc_lo, 0, v[44:45]
	v_and_or_b32 v17, v44, 7, v46
	s_and_b32 s8, s8, vcc_lo
	s_delay_alu instid0(VALU_DEP_1) | instid1(SALU_CYCLE_1)
	v_cndmask_b32_e64 v17, v17, 0, s8
	s_delay_alu instid0(VALU_DEP_1)
	v_or_b32_e32 v46, v17, v5
.LBB2_613:                              ;   in Loop: Header=BB2_323 Depth=3
	s_or_b32 exec_lo, exec_lo, s21
                                        ; implicit-def: $vgpr5
.LBB2_614:                              ;   in Loop: Header=BB2_323 Depth=3
	s_and_not1_saveexec_b32 s8, s20
; %bb.615:                              ;   in Loop: Header=BB2_323 Depth=3
	v_or_b32_e32 v46, 0x7e, v5
; %bb.616:                              ;   in Loop: Header=BB2_323 Depth=3
	s_or_b32 exec_lo, exec_lo, s8
                                        ; implicit-def: $vgpr5
.LBB2_617:                              ;   in Loop: Header=BB2_323 Depth=3
	s_and_not1_saveexec_b32 s8, s19
; %bb.618:                              ;   in Loop: Header=BB2_323 Depth=3
	v_or_b32_e32 v46, 0x7f, v5
; %bb.619:                              ;   in Loop: Header=BB2_323 Depth=3
	s_or_b32 exec_lo, exec_lo, s8
	v_dual_mov_b32 v5, 0 :: v_dual_mov_b32 v17, 0
	s_mov_b32 s8, exec_lo
	v_cmpx_lt_u32_e32 0xffffff, v16
	s_cbranch_execz .LBB2_627
; %bb.620:                              ;   in Loop: Header=BB2_323 Depth=3
	v_lshrrev_b32_e32 v44, 24, v16
	v_bfrev_b32_e32 v17, 1
	s_mov_b32 s19, exec_lo
	s_delay_alu instid0(VALU_DEP_2)
	v_cmpx_ne_u32_e32 0x80, v44
	s_cbranch_execz .LBB2_626
; %bb.621:                              ;   in Loop: Header=BB2_323 Depth=3
	v_bfe_u32 v47, v16, 24, 7
	v_mov_b32_e32 v17, 0x7f800001
	s_mov_b32 s20, exec_lo
	s_delay_alu instid0(VALU_DEP_2)
	v_cmpx_ne_u32_e32 0x7f, v47
	s_cbranch_execz .LBB2_625
; %bb.622:                              ;   in Loop: Header=BB2_323 Depth=3
	v_dual_mov_b32 v17, v65 :: v_dual_bitop2_b32 v16, 7, v44 bitop3:0x40
	v_lshrrev_b32_e32 v45, 3, v47
	s_mov_b32 s21, exec_lo
	v_cmpx_gt_u32_e32 8, v47
; %bb.623:                              ;   in Loop: Header=BB2_323 Depth=3
	s_delay_alu instid0(VALU_DEP_3) | instskip(NEXT) | instid1(VALU_DEP_1)
	v_clz_i32_u32_e32 v45, v16
	v_min_u32_e32 v45, 32, v45
	s_delay_alu instid0(VALU_DEP_1) | instskip(NEXT) | instid1(VALU_DEP_1)
	v_subrev_nc_u32_e32 v47, 28, v45
	v_lshlrev_b64_e32 v[16:17], v47, v[16:17]
	s_delay_alu instid0(VALU_DEP_1)
	v_dual_sub_nc_u32 v45, 29, v45 :: v_dual_bitop2_b32 v16, 7, v16 bitop3:0x40
; %bb.624:                              ;   in Loop: Header=BB2_323 Depth=3
	s_or_b32 exec_lo, exec_lo, s21
	v_lshlrev_b32_e32 v17, 24, v44
	s_delay_alu instid0(VALU_DEP_2) | instskip(NEXT) | instid1(VALU_DEP_3)
	v_lshlrev_b32_e32 v16, 20, v16
	v_lshl_add_u32 v44, v45, 23, 0x3c000000
	s_delay_alu instid0(VALU_DEP_3) | instskip(NEXT) | instid1(VALU_DEP_1)
	v_and_b32_e32 v17, 0x80000000, v17
	v_or3_b32 v17, v16, v17, v44
.LBB2_625:                              ;   in Loop: Header=BB2_323 Depth=3
	s_or_b32 exec_lo, exec_lo, s20
.LBB2_626:                              ;   in Loop: Header=BB2_323 Depth=3
	s_delay_alu instid0(SALU_CYCLE_1)
	s_or_b32 exec_lo, exec_lo, s19
.LBB2_627:                              ;   in Loop: Header=BB2_323 Depth=3
	s_delay_alu instid0(SALU_CYCLE_1) | instskip(NEXT) | instid1(SALU_CYCLE_1)
	s_or_b32 exec_lo, exec_lo, s8
	s_mov_b32 s8, exec_lo
	v_cmpx_lt_u32_e32 0xffffff, v4
	s_cbranch_execz .LBB2_635
; %bb.628:                              ;   in Loop: Header=BB2_323 Depth=3
	v_lshrrev_b32_e32 v16, 24, v4
	v_bfrev_b32_e32 v5, 1
	s_mov_b32 s19, exec_lo
	s_delay_alu instid0(VALU_DEP_2)
	v_cmpx_ne_u32_e32 0x80, v16
	s_cbranch_execz .LBB2_634
; %bb.629:                              ;   in Loop: Header=BB2_323 Depth=3
	v_bfe_u32 v45, v4, 24, 7
	v_mov_b32_e32 v5, 0x7f800001
	s_mov_b32 s20, exec_lo
	s_delay_alu instid0(VALU_DEP_2)
	v_cmpx_ne_u32_e32 0x7f, v45
	s_cbranch_execz .LBB2_633
; %bb.630:                              ;   in Loop: Header=BB2_323 Depth=3
	v_dual_mov_b32 v5, v65 :: v_dual_bitop2_b32 v4, 7, v16 bitop3:0x40
	v_lshrrev_b32_e32 v44, 3, v45
	s_mov_b32 s21, exec_lo
	v_cmpx_gt_u32_e32 8, v45
; %bb.631:                              ;   in Loop: Header=BB2_323 Depth=3
	s_delay_alu instid0(VALU_DEP_3) | instskip(NEXT) | instid1(VALU_DEP_1)
	v_clz_i32_u32_e32 v44, v4
	v_min_u32_e32 v44, 32, v44
	s_delay_alu instid0(VALU_DEP_1) | instskip(SKIP_1) | instid1(VALU_DEP_2)
	v_subrev_nc_u32_e32 v45, 28, v44
	v_sub_nc_u32_e32 v44, 29, v44
	v_lshlrev_b64_e32 v[4:5], v45, v[4:5]
	s_delay_alu instid0(VALU_DEP_1)
	v_and_b32_e32 v4, 7, v4
; %bb.632:                              ;   in Loop: Header=BB2_323 Depth=3
	s_or_b32 exec_lo, exec_lo, s21
	v_lshlrev_b32_e32 v5, 24, v16
	s_delay_alu instid0(VALU_DEP_2) | instskip(SKIP_1) | instid1(VALU_DEP_3)
	v_lshlrev_b32_e32 v4, 20, v4
	v_lshl_add_u32 v16, v44, 23, 0x3c000000
	v_and_b32_e32 v5, 0x80000000, v5
	s_delay_alu instid0(VALU_DEP_1)
	v_or3_b32 v5, v4, v5, v16
.LBB2_633:                              ;   in Loop: Header=BB2_323 Depth=3
	s_or_b32 exec_lo, exec_lo, s20
.LBB2_634:                              ;   in Loop: Header=BB2_323 Depth=3
	s_delay_alu instid0(SALU_CYCLE_1)
	s_or_b32 exec_lo, exec_lo, s19
.LBB2_635:                              ;   in Loop: Header=BB2_323 Depth=3
	s_delay_alu instid0(SALU_CYCLE_1) | instskip(NEXT) | instid1(VALU_DEP_1)
	s_or_b32 exec_lo, exec_lo, s8
	v_add_f32_e32 v4, v17, v5
	v_mov_b32_e32 v17, v65
                                        ; implicit-def: $vgpr47
	s_mov_b32 s8, exec_lo
	s_delay_alu instid0(VALU_DEP_2) | instskip(SKIP_1) | instid1(VALU_DEP_2)
	v_and_b32_e32 v16, 0x7f800000, v4
	v_lshrrev_b32_e32 v5, 24, v4
	v_cmpx_ne_u64_e32 0x7f800000, v[16:17]
	s_xor_b32 s19, exec_lo, s8
	s_cbranch_execz .LBB2_649
; %bb.636:                              ;   in Loop: Header=BB2_323 Depth=3
	v_and_b32_e32 v16, 0x7fffffff, v4
	v_mov_b32_e32 v17, v65
	v_and_b32_e32 v44, 0x80, v5
                                        ; implicit-def: $vgpr47
	s_mov_b32 s8, exec_lo
	s_delay_alu instid0(VALU_DEP_2)
	v_cmpx_gt_u64_e32 0x43e00001, v[16:17]
	s_xor_b32 s20, exec_lo, s8
	s_cbranch_execz .LBB2_646
; %bb.637:                              ;   in Loop: Header=BB2_323 Depth=3
	v_mov_b32_e32 v47, 0
	s_mov_b32 s21, exec_lo
	v_cmpx_ne_u32_e32 0, v4
	s_cbranch_execz .LBB2_645
; %bb.638:                              ;   in Loop: Header=BB2_323 Depth=3
	v_bfe_u32 v45, v4, 23, 8
	v_and_b32_e32 v16, 0x7fffff, v4
	s_mov_b32 s22, exec_lo
	s_delay_alu instid0(VALU_DEP_2) | instskip(NEXT) | instid1(VALU_DEP_2)
	v_cmp_gt_u32_e32 vcc_lo, 0x7a, v45
	v_or_b32_e32 v17, 0x800000, v16
	v_sub_nc_u32_e32 v5, 0x79, v45
	s_delay_alu instid0(VALU_DEP_1) | instskip(SKIP_1) | instid1(VALU_DEP_2)
	v_cndmask_b32_e32 v5, 0, v5, vcc_lo
	v_cmp_eq_u32_e32 vcc_lo, 0, v45
	v_cndmask_b32_e64 v47, v5, 0x78, vcc_lo
	v_cndmask_b32_e32 v16, v17, v16, vcc_lo
	s_delay_alu instid0(VALU_DEP_2) | instskip(SKIP_1) | instid1(VALU_DEP_2)
	v_dual_mov_b32 v17, v65 :: v_dual_add_nc_u32 v76, 19, v47
	v_add_nc_u32_e32 v4, 20, v47
	v_lshlrev_b64_e64 v[76:77], v76, 1
	s_delay_alu instid0(VALU_DEP_2) | instskip(NEXT) | instid1(VALU_DEP_1)
	v_lshlrev_b64_e64 v[4:5], v4, -1
	v_bfi_b32 v79, v5, 0, 0
	s_delay_alu instid0(VALU_DEP_2) | instskip(SKIP_1) | instid1(VALU_DEP_1)
	v_bfi_b32 v78, v4, 0, v16
	v_lshrrev_b64 v[4:5], v47, v[16:17]
	v_mov_b64_e32 v[16:17], v[4:5]
	s_delay_alu instid0(VALU_DEP_3)
	v_cmpx_eq_u64_e64 v[78:79], v[76:77]
; %bb.639:                              ;   in Loop: Header=BB2_323 Depth=3
	v_bfe_u32 v16, v4, 20, 1
	v_mov_b32_e32 v17, v65
	s_delay_alu instid0(VALU_DEP_1) | instskip(NEXT) | instid1(VALU_DEP_1)
	v_add_nc_u64_e32 v[16:17], v[4:5], v[16:17]
	v_add_nc_u64_e32 v[16:17], -1, v[16:17]
; %bb.640:                              ;   in Loop: Header=BB2_323 Depth=3
	s_or_b32 exec_lo, exec_lo, s22
	v_add_nc_u32_e32 v5, 0xffffff81, v45
	v_lshrrev_b32_e32 v17, 23, v4
	s_mov_b32 s8, exec_lo
	s_delay_alu instid0(VALU_DEP_2) | instskip(NEXT) | instid1(VALU_DEP_1)
	v_cndmask_b32_e64 v5, v5, 0xffffff82, vcc_lo
	v_add3_u32 v17, v47, v5, v17
	v_and_b32_e32 v5, 0xfffff, v16
                                        ; implicit-def: $vgpr16
	s_delay_alu instid0(VALU_DEP_1) | instskip(SKIP_1) | instid1(VALU_DEP_2)
	v_dual_add_nc_u32 v45, 6, v17 :: v_dual_add_nc_u32 v4, v5, v4
	v_mov_b32_e32 v5, v65
	v_cmpx_ne_u32_e32 0, v45
	s_xor_b32 s8, exec_lo, s8
; %bb.641:                              ;   in Loop: Header=BB2_323 Depth=3
	s_delay_alu instid0(VALU_DEP_2) | instskip(SKIP_2) | instid1(VALU_DEP_2)
	v_cmp_lt_u64_e32 vcc_lo, 0xffffff, v[4:5]
	v_add_nc_u32_e32 v16, 7, v17
	v_cndmask_b32_e64 v17, 0, 1, vcc_lo
	v_cndmask_b32_e32 v16, v45, v16, vcc_lo
	s_delay_alu instid0(VALU_DEP_2)
	v_lshrrev_b64 v[4:5], v17, v[4:5]
; %bb.642:                              ;   in Loop: Header=BB2_323 Depth=3
	s_and_not1_saveexec_b32 s8, s8
; %bb.643:                              ;   in Loop: Header=BB2_323 Depth=3
	s_delay_alu instid0(VALU_DEP_1)
	v_bfe_u32 v16, v4, 23, 1
; %bb.644:                              ;   in Loop: Header=BB2_323 Depth=3
	s_or_b32 exec_lo, exec_lo, s8
	s_delay_alu instid0(VALU_DEP_2) | instskip(NEXT) | instid1(VALU_DEP_2)
	v_lshrrev_b64 v[4:5], 20, v[4:5]
	v_cmp_gt_i32_e32 vcc_lo, 16, v16
	v_min_i32_e32 v17, 15, v16
	v_cmp_eq_u32_e64 s8, 0, v16
	s_delay_alu instid0(VALU_DEP_4) | instskip(NEXT) | instid1(VALU_DEP_3)
	v_cndmask_b32_e32 v5, 0, v5, vcc_lo
	v_dual_cndmask_b32 v4, 7, v4 :: v_dual_lshlrev_b32 v17, 3, v17
	s_delay_alu instid0(VALU_DEP_1) | instskip(NEXT) | instid1(VALU_DEP_2)
	v_and_b32_e32 v17, 0xf8, v17
	v_cmp_eq_u64_e32 vcc_lo, 0, v[4:5]
	s_delay_alu instid0(VALU_DEP_2)
	v_and_or_b32 v4, v4, 7, v17
	s_and_b32 s8, s8, vcc_lo
	s_delay_alu instid0(VALU_DEP_1) | instid1(SALU_CYCLE_1)
	v_cndmask_b32_e64 v4, v4, 0, s8
	s_delay_alu instid0(VALU_DEP_1)
	v_or_b32_e32 v47, v4, v44
.LBB2_645:                              ;   in Loop: Header=BB2_323 Depth=3
	s_or_b32 exec_lo, exec_lo, s21
                                        ; implicit-def: $vgpr44
.LBB2_646:                              ;   in Loop: Header=BB2_323 Depth=3
	s_and_not1_saveexec_b32 s8, s20
; %bb.647:                              ;   in Loop: Header=BB2_323 Depth=3
	v_or_b32_e32 v47, 0x7e, v44
; %bb.648:                              ;   in Loop: Header=BB2_323 Depth=3
	s_or_b32 exec_lo, exec_lo, s8
                                        ; implicit-def: $vgpr5
.LBB2_649:                              ;   in Loop: Header=BB2_323 Depth=3
	s_and_not1_saveexec_b32 s8, s19
; %bb.650:                              ;   in Loop: Header=BB2_323 Depth=3
	v_or_b32_e32 v47, 0x7f, v5
; %bb.651:                              ;   in Loop: Header=BB2_323 Depth=3
	s_or_b32 exec_lo, exec_lo, s8
	v_and_b32_e32 v4, 0xff, v18
	v_dual_mov_b32 v16, 0 :: v_dual_mov_b32 v17, 0
	s_mov_b32 s8, exec_lo
	s_delay_alu instid0(VALU_DEP_2)
	v_cmpx_ne_u16_e32 0, v4
	s_cbranch_execz .LBB2_657
; %bb.652:                              ;   in Loop: Header=BB2_323 Depth=3
	v_bfrev_b32_e32 v17, 1
	s_mov_b32 s19, exec_lo
	v_cmpx_ne_u16_e32 0x80, v4
	s_cbranch_execz .LBB2_656
; %bb.653:                              ;   in Loop: Header=BB2_323 Depth=3
	v_and_b32_e32 v4, 0x7f, v18
	v_mov_b32_e32 v17, 0x7f800001
	s_mov_b32 s20, exec_lo
	s_delay_alu instid0(VALU_DEP_2)
	v_cmpx_ne_u32_e32 0x7f, v4
	s_cbranch_execz .LBB2_655
; %bb.654:                              ;   in Loop: Header=BB2_323 Depth=3
	v_dual_lshrrev_b32 v17, 3, v4 :: v_dual_bitop2_b32 v5, 7, v18 bitop3:0x40
	v_cmp_gt_u32_e32 vcc_lo, 8, v4
	s_delay_alu instid0(VALU_DEP_2) | instskip(NEXT) | instid1(VALU_DEP_1)
	v_clz_i32_u32_e32 v5, v5
	v_min_u32_e32 v5, 32, v5
	s_delay_alu instid0(VALU_DEP_1) | instskip(NEXT) | instid1(VALU_DEP_1)
	v_subrev_nc_u32_e32 v44, 28, v5
	v_dual_cndmask_b32 v4, 0, v44 :: v_dual_sub_nc_u32 v5, 29, v5
	s_delay_alu instid0(VALU_DEP_1) | instskip(NEXT) | instid1(VALU_DEP_2)
	v_cndmask_b32_e32 v17, v17, v5, vcc_lo
	v_lshlrev_b64_e32 v[4:5], v4, v[18:19]
	v_lshlrev_b32_e32 v5, 24, v18
	s_delay_alu instid0(VALU_DEP_3) | instskip(NEXT) | instid1(VALU_DEP_2)
	v_lshl_add_u32 v17, v17, 23, 0x3c000000
	v_and_b32_e32 v5, 0x80000000, v5
	s_delay_alu instid0(VALU_DEP_4) | instskip(NEXT) | instid1(VALU_DEP_1)
	v_lshlrev_b32_e32 v4, 20, v4
	v_and_b32_e32 v4, 0x700000, v4
	s_delay_alu instid0(VALU_DEP_1)
	v_or3_b32 v17, v4, v5, v17
.LBB2_655:                              ;   in Loop: Header=BB2_323 Depth=3
	s_or_b32 exec_lo, exec_lo, s20
.LBB2_656:                              ;   in Loop: Header=BB2_323 Depth=3
	s_delay_alu instid0(SALU_CYCLE_1)
	s_or_b32 exec_lo, exec_lo, s19
.LBB2_657:                              ;   in Loop: Header=BB2_323 Depth=3
	s_delay_alu instid0(SALU_CYCLE_1) | instskip(SKIP_4) | instid1(VALU_DEP_2)
	s_or_b32 exec_lo, exec_lo, s8
	v_dual_lshlrev_b32 v4, 24, v75 :: v_dual_lshlrev_b32 v19, 16, v74
	v_lshl_or_b32 v73, v73, 8, v63
	v_mov_b32_e32 v5, v65
	s_mov_b32 s8, exec_lo
	v_or3_b32 v4, v19, v4, v73
	v_cmpx_ne_u32_e32 0, v63
	s_cbranch_execz .LBB2_663
; %bb.658:                              ;   in Loop: Header=BB2_323 Depth=3
	v_bfrev_b32_e32 v16, 1
	s_mov_b32 s19, exec_lo
	v_cmpx_ne_u32_e32 0x80, v63
	s_cbranch_execz .LBB2_662
; %bb.659:                              ;   in Loop: Header=BB2_323 Depth=3
	v_and_b32_e32 v19, 0x7f, v63
	v_mov_b32_e32 v16, 0x7f800001
	s_mov_b32 s20, exec_lo
	s_delay_alu instid0(VALU_DEP_2)
	v_cmpx_ne_u32_e32 0x7f, v19
	s_cbranch_execz .LBB2_661
; %bb.660:                              ;   in Loop: Header=BB2_323 Depth=3
	v_cmp_gt_u32_e32 vcc_lo, 8, v19
	v_and_b32_e32 v16, 7, v63
	s_delay_alu instid0(VALU_DEP_1) | instskip(NEXT) | instid1(VALU_DEP_1)
	v_clz_i32_u32_e32 v16, v16
	v_min_u32_e32 v16, 32, v16
	v_lshrrev_b32_e32 v44, 3, v19
	s_delay_alu instid0(VALU_DEP_2) | instskip(NEXT) | instid1(VALU_DEP_1)
	v_subrev_nc_u32_e32 v45, 28, v16
	v_dual_cndmask_b32 v19, 0, v45 :: v_dual_sub_nc_u32 v16, 29, v16
	s_delay_alu instid0(VALU_DEP_1) | instskip(NEXT) | instid1(VALU_DEP_2)
	v_cndmask_b32_e32 v16, v44, v16, vcc_lo
	v_lshlrev_b64_e32 v[44:45], v19, v[4:5]
	v_lshlrev_b32_e32 v5, 24, v4
	s_delay_alu instid0(VALU_DEP_3) | instskip(NEXT) | instid1(VALU_DEP_2)
	v_lshl_add_u32 v16, v16, 23, 0x3c000000
	v_and_b32_e32 v5, 0x80000000, v5
	s_delay_alu instid0(VALU_DEP_4) | instskip(NEXT) | instid1(VALU_DEP_1)
	v_lshlrev_b32_e32 v19, 20, v44
	v_and_b32_e32 v19, 0x700000, v19
	s_delay_alu instid0(VALU_DEP_1)
	v_or3_b32 v16, v19, v5, v16
.LBB2_661:                              ;   in Loop: Header=BB2_323 Depth=3
	s_or_b32 exec_lo, exec_lo, s20
.LBB2_662:                              ;   in Loop: Header=BB2_323 Depth=3
	s_delay_alu instid0(SALU_CYCLE_1)
	s_or_b32 exec_lo, exec_lo, s19
.LBB2_663:                              ;   in Loop: Header=BB2_323 Depth=3
	s_delay_alu instid0(SALU_CYCLE_1) | instskip(NEXT) | instid1(VALU_DEP_1)
	s_or_b32 exec_lo, exec_lo, s8
	v_add_f32_e32 v16, v17, v16
	v_mov_b32_e32 v45, v65
                                        ; implicit-def: $vgpr19
	s_mov_b32 s8, exec_lo
	s_delay_alu instid0(VALU_DEP_2) | instskip(SKIP_1) | instid1(VALU_DEP_2)
	v_and_b32_e32 v44, 0x7f800000, v16
	v_lshrrev_b32_e32 v5, 24, v16
	v_cmpx_ne_u64_e32 0x7f800000, v[44:45]
	s_xor_b32 s19, exec_lo, s8
	s_cbranch_execz .LBB2_677
; %bb.664:                              ;   in Loop: Header=BB2_323 Depth=3
	v_and_b32_e32 v44, 0x7fffffff, v16
	v_mov_b32_e32 v45, v65
	v_and_b32_e32 v5, 0x80, v5
                                        ; implicit-def: $vgpr19
	s_mov_b32 s8, exec_lo
	s_delay_alu instid0(VALU_DEP_2)
	v_cmpx_gt_u64_e32 0x43e00001, v[44:45]
	s_xor_b32 s20, exec_lo, s8
	s_cbranch_execz .LBB2_674
; %bb.665:                              ;   in Loop: Header=BB2_323 Depth=3
	v_mov_b32_e32 v19, 0
	s_mov_b32 s21, exec_lo
	v_cmpx_ne_u32_e32 0, v16
	s_cbranch_execz .LBB2_673
; %bb.666:                              ;   in Loop: Header=BB2_323 Depth=3
	v_bfe_u32 v19, v16, 23, 8
	v_and_b32_e32 v44, 0x7fffff, v16
	s_mov_b32 s22, exec_lo
	s_delay_alu instid0(VALU_DEP_2) | instskip(NEXT) | instid1(VALU_DEP_2)
	v_cmp_gt_u32_e32 vcc_lo, 0x7a, v19
	v_or_b32_e32 v45, 0x800000, v44
	v_sub_nc_u32_e32 v17, 0x79, v19
	s_delay_alu instid0(VALU_DEP_1) | instskip(SKIP_1) | instid1(VALU_DEP_2)
	v_cndmask_b32_e32 v17, 0, v17, vcc_lo
	v_cmp_eq_u32_e32 vcc_lo, 0, v19
	v_cndmask_b32_e64 v63, v17, 0x78, vcc_lo
	v_cndmask_b32_e32 v44, v45, v44, vcc_lo
	s_delay_alu instid0(VALU_DEP_2) | instskip(SKIP_1) | instid1(VALU_DEP_2)
	v_dual_mov_b32 v45, v65 :: v_dual_add_nc_u32 v74, 19, v63
	v_add_nc_u32_e32 v16, 20, v63
	v_lshlrev_b64_e64 v[74:75], v74, 1
	s_delay_alu instid0(VALU_DEP_2) | instskip(NEXT) | instid1(VALU_DEP_1)
	v_lshlrev_b64_e64 v[16:17], v16, -1
	v_bfi_b32 v77, v17, 0, 0
	s_delay_alu instid0(VALU_DEP_2) | instskip(SKIP_1) | instid1(VALU_DEP_1)
	v_bfi_b32 v76, v16, 0, v44
	v_lshrrev_b64 v[16:17], v63, v[44:45]
	v_mov_b64_e32 v[44:45], v[16:17]
	s_delay_alu instid0(VALU_DEP_3)
	v_cmpx_eq_u64_e64 v[76:77], v[74:75]
; %bb.667:                              ;   in Loop: Header=BB2_323 Depth=3
	v_bfe_u32 v44, v16, 20, 1
	v_mov_b32_e32 v45, v65
	s_delay_alu instid0(VALU_DEP_1) | instskip(NEXT) | instid1(VALU_DEP_1)
	v_add_nc_u64_e32 v[44:45], v[16:17], v[44:45]
	v_add_nc_u64_e32 v[44:45], -1, v[44:45]
; %bb.668:                              ;   in Loop: Header=BB2_323 Depth=3
	s_or_b32 exec_lo, exec_lo, s22
	v_add_nc_u32_e32 v17, 0xffffff81, v19
	v_lshrrev_b32_e32 v19, 23, v16
	s_mov_b32 s8, exec_lo
	s_delay_alu instid0(VALU_DEP_2) | instskip(NEXT) | instid1(VALU_DEP_1)
	v_cndmask_b32_e64 v17, v17, 0xffffff82, vcc_lo
	v_add3_u32 v45, v63, v17, v19
	v_and_b32_e32 v17, 0xfffff, v44
                                        ; implicit-def: $vgpr19
	s_delay_alu instid0(VALU_DEP_1) | instskip(SKIP_1) | instid1(VALU_DEP_2)
	v_dual_add_nc_u32 v44, 6, v45 :: v_dual_add_nc_u32 v16, v17, v16
	v_mov_b32_e32 v17, v65
	v_cmpx_ne_u32_e32 0, v44
	s_xor_b32 s8, exec_lo, s8
; %bb.669:                              ;   in Loop: Header=BB2_323 Depth=3
	s_delay_alu instid0(VALU_DEP_2) | instskip(SKIP_1) | instid1(VALU_DEP_1)
	v_cmp_lt_u64_e32 vcc_lo, 0xffffff, v[16:17]
	v_add_nc_u32_e32 v19, 7, v45
	v_cndmask_b32_e32 v19, v44, v19, vcc_lo
	v_cndmask_b32_e64 v44, 0, 1, vcc_lo
	s_delay_alu instid0(VALU_DEP_1)
	v_lshrrev_b64 v[16:17], v44, v[16:17]
; %bb.670:                              ;   in Loop: Header=BB2_323 Depth=3
	s_and_not1_saveexec_b32 s8, s8
; %bb.671:                              ;   in Loop: Header=BB2_323 Depth=3
	s_delay_alu instid0(VALU_DEP_1)
	v_bfe_u32 v19, v16, 23, 1
; %bb.672:                              ;   in Loop: Header=BB2_323 Depth=3
	s_or_b32 exec_lo, exec_lo, s8
	s_delay_alu instid0(VALU_DEP_2) | instskip(NEXT) | instid1(VALU_DEP_2)
	v_lshrrev_b64 v[16:17], 20, v[16:17]
	v_cmp_gt_i32_e32 vcc_lo, 16, v19
	v_min_i32_e32 v44, 15, v19
	v_cmp_eq_u32_e64 s8, 0, v19
	s_delay_alu instid0(VALU_DEP_2) | instskip(SKIP_1) | instid1(VALU_DEP_2)
	v_dual_cndmask_b32 v17, 0, v17 :: v_dual_lshlrev_b32 v44, 3, v44
	v_cndmask_b32_e32 v16, 7, v16, vcc_lo
	v_and_b32_e32 v44, 0xf8, v44
	s_delay_alu instid0(VALU_DEP_2) | instskip(NEXT) | instid1(VALU_DEP_2)
	v_cmp_eq_u64_e32 vcc_lo, 0, v[16:17]
	v_and_or_b32 v16, v16, 7, v44
	s_and_b32 s8, s8, vcc_lo
	s_delay_alu instid0(VALU_DEP_1) | instid1(SALU_CYCLE_1)
	v_cndmask_b32_e64 v16, v16, 0, s8
	s_delay_alu instid0(VALU_DEP_1)
	v_or_b32_e32 v19, v16, v5
.LBB2_673:                              ;   in Loop: Header=BB2_323 Depth=3
	s_or_b32 exec_lo, exec_lo, s21
                                        ; implicit-def: $vgpr5
.LBB2_674:                              ;   in Loop: Header=BB2_323 Depth=3
	s_and_not1_saveexec_b32 s8, s20
; %bb.675:                              ;   in Loop: Header=BB2_323 Depth=3
	v_or_b32_e32 v19, 0x7e, v5
; %bb.676:                              ;   in Loop: Header=BB2_323 Depth=3
	s_or_b32 exec_lo, exec_lo, s8
                                        ; implicit-def: $vgpr5
.LBB2_677:                              ;   in Loop: Header=BB2_323 Depth=3
	s_and_not1_saveexec_b32 s8, s19
; %bb.678:                              ;   in Loop: Header=BB2_323 Depth=3
	v_or_b32_e32 v19, 0x7f, v5
; %bb.679:                              ;   in Loop: Header=BB2_323 Depth=3
	s_or_b32 exec_lo, exec_lo, s8
	v_lshrrev_b16 v16, 8, v18
	v_dual_mov_b32 v5, 0 :: v_dual_mov_b32 v44, 0
	s_mov_b32 s8, exec_lo
	s_delay_alu instid0(VALU_DEP_2)
	v_cmpx_ne_u16_e32 0, v16
	s_cbranch_execz .LBB2_687
; %bb.680:                              ;   in Loop: Header=BB2_323 Depth=3
	v_bfrev_b32_e32 v44, 1
	s_mov_b32 s19, exec_lo
	v_cmpx_ne_u16_e32 0x80, v16
	s_cbranch_execz .LBB2_686
; %bb.681:                              ;   in Loop: Header=BB2_323 Depth=3
	v_and_b32_e32 v16, 0xffff, v16
	v_mov_b32_e32 v44, 0x7f800001
	s_mov_b32 s20, exec_lo
	s_delay_alu instid0(VALU_DEP_2) | instskip(NEXT) | instid1(VALU_DEP_1)
	v_and_b32_e32 v45, 0x7f, v16
	v_cmpx_ne_u32_e32 0x7f, v45
	s_cbranch_execz .LBB2_685
; %bb.682:                              ;   in Loop: Header=BB2_323 Depth=3
	v_dual_mov_b32 v17, v65 :: v_dual_bitop2_b32 v16, 7, v16 bitop3:0x40
	v_lshrrev_b32_e32 v44, 3, v45
	s_mov_b32 s21, exec_lo
	v_cmpx_gt_u32_e32 8, v45
; %bb.683:                              ;   in Loop: Header=BB2_323 Depth=3
	s_delay_alu instid0(VALU_DEP_3) | instskip(NEXT) | instid1(VALU_DEP_1)
	v_clz_i32_u32_e32 v44, v16
	v_min_u32_e32 v44, 32, v44
	s_delay_alu instid0(VALU_DEP_1) | instskip(SKIP_1) | instid1(VALU_DEP_2)
	v_subrev_nc_u32_e32 v45, 28, v44
	v_sub_nc_u32_e32 v44, 29, v44
	v_lshlrev_b64_e32 v[16:17], v45, v[16:17]
	s_delay_alu instid0(VALU_DEP_1)
	v_and_b32_e32 v16, 7, v16
; %bb.684:                              ;   in Loop: Header=BB2_323 Depth=3
	s_or_b32 exec_lo, exec_lo, s21
	s_delay_alu instid0(VALU_DEP_1) | instskip(SKIP_1) | instid1(VALU_DEP_2)
	v_dual_lshlrev_b32 v17, 16, v18 :: v_dual_lshlrev_b32 v16, 20, v16
	v_lshl_add_u32 v44, v44, 23, 0x3c000000
	v_and_b32_e32 v17, 0x80000000, v17
	s_delay_alu instid0(VALU_DEP_1)
	v_or3_b32 v44, v16, v17, v44
.LBB2_685:                              ;   in Loop: Header=BB2_323 Depth=3
	s_or_b32 exec_lo, exec_lo, s20
.LBB2_686:                              ;   in Loop: Header=BB2_323 Depth=3
	s_delay_alu instid0(SALU_CYCLE_1)
	s_or_b32 exec_lo, exec_lo, s19
.LBB2_687:                              ;   in Loop: Header=BB2_323 Depth=3
	s_delay_alu instid0(SALU_CYCLE_1) | instskip(SKIP_2) | instid1(VALU_DEP_1)
	s_or_b32 exec_lo, exec_lo, s8
	v_lshrrev_b16 v16, 8, v73
	s_mov_b32 s8, exec_lo
	v_cmpx_ne_u16_e32 0, v16
	s_cbranch_execz .LBB2_695
; %bb.688:                              ;   in Loop: Header=BB2_323 Depth=3
	v_bfrev_b32_e32 v5, 1
	s_mov_b32 s19, exec_lo
	v_cmpx_ne_u16_e32 0x80, v16
	s_cbranch_execz .LBB2_694
; %bb.689:                              ;   in Loop: Header=BB2_323 Depth=3
	v_and_b32_e32 v16, 0xffff, v16
	v_mov_b32_e32 v5, 0x7f800001
	s_mov_b32 s20, exec_lo
	s_delay_alu instid0(VALU_DEP_2) | instskip(NEXT) | instid1(VALU_DEP_1)
	v_and_b32_e32 v45, 0x7f, v16
	v_cmpx_ne_u32_e32 0x7f, v45
	s_cbranch_execz .LBB2_693
; %bb.690:                              ;   in Loop: Header=BB2_323 Depth=3
	v_dual_mov_b32 v17, v65 :: v_dual_bitop2_b32 v16, 7, v16 bitop3:0x40
	v_lshrrev_b32_e32 v5, 3, v45
	s_mov_b32 s21, exec_lo
	v_cmpx_gt_u32_e32 8, v45
; %bb.691:                              ;   in Loop: Header=BB2_323 Depth=3
	s_delay_alu instid0(VALU_DEP_3) | instskip(NEXT) | instid1(VALU_DEP_1)
	v_clz_i32_u32_e32 v5, v16
	v_min_u32_e32 v5, 32, v5
	s_delay_alu instid0(VALU_DEP_1) | instskip(NEXT) | instid1(VALU_DEP_1)
	v_subrev_nc_u32_e32 v45, 28, v5
	v_lshlrev_b64_e32 v[16:17], v45, v[16:17]
	s_delay_alu instid0(VALU_DEP_1)
	v_dual_sub_nc_u32 v5, 29, v5 :: v_dual_bitop2_b32 v16, 7, v16 bitop3:0x40
; %bb.692:                              ;   in Loop: Header=BB2_323 Depth=3
	s_or_b32 exec_lo, exec_lo, s21
	s_delay_alu instid0(VALU_DEP_1) | instskip(NEXT) | instid1(VALU_DEP_2)
	v_dual_lshlrev_b32 v17, 16, v73 :: v_dual_lshlrev_b32 v16, 20, v16
	v_lshl_add_u32 v5, v5, 23, 0x3c000000
	s_delay_alu instid0(VALU_DEP_2) | instskip(NEXT) | instid1(VALU_DEP_1)
	v_and_b32_e32 v17, 0x80000000, v17
	v_or3_b32 v5, v16, v17, v5
.LBB2_693:                              ;   in Loop: Header=BB2_323 Depth=3
	s_or_b32 exec_lo, exec_lo, s20
.LBB2_694:                              ;   in Loop: Header=BB2_323 Depth=3
	s_delay_alu instid0(SALU_CYCLE_1)
	s_or_b32 exec_lo, exec_lo, s19
.LBB2_695:                              ;   in Loop: Header=BB2_323 Depth=3
	s_delay_alu instid0(SALU_CYCLE_1) | instskip(NEXT) | instid1(VALU_DEP_1)
	s_or_b32 exec_lo, exec_lo, s8
	v_dual_add_f32 v16, v44, v5 :: v_dual_mov_b32 v45, v65
                                        ; implicit-def: $vgpr63
	s_mov_b32 s8, exec_lo
	s_delay_alu instid0(VALU_DEP_1) | instskip(SKIP_1) | instid1(VALU_DEP_2)
	v_and_b32_e32 v44, 0x7f800000, v16
	v_lshrrev_b32_e32 v5, 24, v16
	v_cmpx_ne_u64_e32 0x7f800000, v[44:45]
	s_xor_b32 s19, exec_lo, s8
	s_cbranch_execz .LBB2_709
; %bb.696:                              ;   in Loop: Header=BB2_323 Depth=3
	v_and_b32_e32 v44, 0x7fffffff, v16
	v_mov_b32_e32 v45, v65
	v_and_b32_e32 v5, 0x80, v5
                                        ; implicit-def: $vgpr63
	s_mov_b32 s8, exec_lo
	s_delay_alu instid0(VALU_DEP_2)
	v_cmpx_gt_u64_e32 0x43e00001, v[44:45]
	s_xor_b32 s20, exec_lo, s8
	s_cbranch_execz .LBB2_706
; %bb.697:                              ;   in Loop: Header=BB2_323 Depth=3
	v_mov_b32_e32 v63, 0
	s_mov_b32 s21, exec_lo
	v_cmpx_ne_u32_e32 0, v16
	s_cbranch_execz .LBB2_705
; %bb.698:                              ;   in Loop: Header=BB2_323 Depth=3
	v_bfe_u32 v63, v16, 23, 8
	v_and_b32_e32 v44, 0x7fffff, v16
	s_mov_b32 s22, exec_lo
	s_delay_alu instid0(VALU_DEP_2) | instskip(NEXT) | instid1(VALU_DEP_2)
	v_cmp_gt_u32_e32 vcc_lo, 0x7a, v63
	v_or_b32_e32 v45, 0x800000, v44
	v_sub_nc_u32_e32 v17, 0x79, v63
	s_delay_alu instid0(VALU_DEP_1) | instskip(SKIP_1) | instid1(VALU_DEP_4)
	v_cndmask_b32_e32 v17, 0, v17, vcc_lo
	v_cmp_eq_u32_e32 vcc_lo, 0, v63
	v_cndmask_b32_e32 v44, v45, v44, vcc_lo
	v_mov_b32_e32 v45, v65
	s_delay_alu instid0(VALU_DEP_4) | instskip(NEXT) | instid1(VALU_DEP_1)
	v_cndmask_b32_e64 v73, v17, 0x78, vcc_lo
	v_dual_add_nc_u32 v16, 20, v73 :: v_dual_add_nc_u32 v74, 19, v73
	s_delay_alu instid0(VALU_DEP_1) | instskip(NEXT) | instid1(VALU_DEP_2)
	v_lshlrev_b64_e64 v[16:17], v16, -1
	v_lshlrev_b64_e64 v[74:75], v74, 1
	s_delay_alu instid0(VALU_DEP_2) | instskip(NEXT) | instid1(VALU_DEP_3)
	v_bfi_b32 v77, v17, 0, 0
	v_bfi_b32 v76, v16, 0, v44
	v_lshrrev_b64 v[16:17], v73, v[44:45]
	s_delay_alu instid0(VALU_DEP_1) | instskip(NEXT) | instid1(VALU_DEP_3)
	v_mov_b64_e32 v[44:45], v[16:17]
	v_cmpx_eq_u64_e64 v[76:77], v[74:75]
; %bb.699:                              ;   in Loop: Header=BB2_323 Depth=3
	v_bfe_u32 v44, v16, 20, 1
	v_mov_b32_e32 v45, v65
	s_delay_alu instid0(VALU_DEP_1) | instskip(NEXT) | instid1(VALU_DEP_1)
	v_add_nc_u64_e32 v[44:45], v[16:17], v[44:45]
	v_add_nc_u64_e32 v[44:45], -1, v[44:45]
; %bb.700:                              ;   in Loop: Header=BB2_323 Depth=3
	s_or_b32 exec_lo, exec_lo, s22
	v_add_nc_u32_e32 v17, 0xffffff81, v63
	v_lshrrev_b32_e32 v45, 23, v16
	s_mov_b32 s8, exec_lo
	s_delay_alu instid0(VALU_DEP_2) | instskip(NEXT) | instid1(VALU_DEP_1)
	v_cndmask_b32_e64 v17, v17, 0xffffff82, vcc_lo
	v_add3_u32 v45, v73, v17, v45
	v_and_b32_e32 v17, 0xfffff, v44
                                        ; implicit-def: $vgpr44
	s_delay_alu instid0(VALU_DEP_1) | instskip(SKIP_1) | instid1(VALU_DEP_2)
	v_dual_add_nc_u32 v63, 6, v45 :: v_dual_add_nc_u32 v16, v17, v16
	v_mov_b32_e32 v17, v65
	v_cmpx_ne_u32_e32 0, v63
	s_xor_b32 s8, exec_lo, s8
; %bb.701:                              ;   in Loop: Header=BB2_323 Depth=3
	s_delay_alu instid0(VALU_DEP_2) | instskip(SKIP_2) | instid1(VALU_DEP_2)
	v_cmp_lt_u64_e32 vcc_lo, 0xffffff, v[16:17]
	v_add_nc_u32_e32 v44, 7, v45
	v_cndmask_b32_e64 v45, 0, 1, vcc_lo
	v_cndmask_b32_e32 v44, v63, v44, vcc_lo
	s_delay_alu instid0(VALU_DEP_2)
	v_lshrrev_b64 v[16:17], v45, v[16:17]
; %bb.702:                              ;   in Loop: Header=BB2_323 Depth=3
	s_and_not1_saveexec_b32 s8, s8
; %bb.703:                              ;   in Loop: Header=BB2_323 Depth=3
	s_delay_alu instid0(VALU_DEP_1)
	v_bfe_u32 v44, v16, 23, 1
; %bb.704:                              ;   in Loop: Header=BB2_323 Depth=3
	s_or_b32 exec_lo, exec_lo, s8
	s_delay_alu instid0(VALU_DEP_2) | instskip(NEXT) | instid1(VALU_DEP_2)
	v_lshrrev_b64 v[16:17], 20, v[16:17]
	v_cmp_gt_i32_e32 vcc_lo, 16, v44
	v_min_i32_e32 v45, 15, v44
	v_cmp_eq_u32_e64 s8, 0, v44
	s_delay_alu instid0(VALU_DEP_4) | instskip(NEXT) | instid1(VALU_DEP_3)
	v_cndmask_b32_e32 v17, 0, v17, vcc_lo
	v_dual_cndmask_b32 v16, 7, v16 :: v_dual_lshlrev_b32 v45, 3, v45
	s_delay_alu instid0(VALU_DEP_1) | instskip(NEXT) | instid1(VALU_DEP_2)
	v_and_b32_e32 v45, 0xf8, v45
	v_cmp_eq_u64_e32 vcc_lo, 0, v[16:17]
	s_delay_alu instid0(VALU_DEP_2)
	v_and_or_b32 v16, v16, 7, v45
	s_and_b32 s8, s8, vcc_lo
	s_delay_alu instid0(VALU_DEP_1) | instid1(SALU_CYCLE_1)
	v_cndmask_b32_e64 v16, v16, 0, s8
	s_delay_alu instid0(VALU_DEP_1)
	v_or_b32_e32 v63, v16, v5
.LBB2_705:                              ;   in Loop: Header=BB2_323 Depth=3
	s_or_b32 exec_lo, exec_lo, s21
                                        ; implicit-def: $vgpr5
.LBB2_706:                              ;   in Loop: Header=BB2_323 Depth=3
	s_and_not1_saveexec_b32 s8, s20
; %bb.707:                              ;   in Loop: Header=BB2_323 Depth=3
	v_or_b32_e32 v63, 0x7e, v5
; %bb.708:                              ;   in Loop: Header=BB2_323 Depth=3
	s_or_b32 exec_lo, exec_lo, s8
                                        ; implicit-def: $vgpr5
.LBB2_709:                              ;   in Loop: Header=BB2_323 Depth=3
	s_and_not1_saveexec_b32 s8, s19
; %bb.710:                              ;   in Loop: Header=BB2_323 Depth=3
	v_or_b32_e32 v63, 0x7f, v5
; %bb.711:                              ;   in Loop: Header=BB2_323 Depth=3
	s_or_b32 exec_lo, exec_lo, s8
	v_dual_lshrrev_b32 v45, 16, v18 :: v_dual_mov_b32 v5, 0
	v_mov_b32_e32 v44, 0
	s_mov_b32 s8, exec_lo
	s_delay_alu instid0(VALU_DEP_2) | instskip(NEXT) | instid1(VALU_DEP_1)
	v_and_b32_e32 v16, 0xff, v45
	v_cmpx_ne_u16_e32 0, v16
	s_cbranch_execz .LBB2_719
; %bb.712:                              ;   in Loop: Header=BB2_323 Depth=3
	v_bfrev_b32_e32 v44, 1
	s_mov_b32 s19, exec_lo
	v_cmpx_ne_u16_e32 0x80, v16
	s_cbranch_execz .LBB2_718
; %bb.713:                              ;   in Loop: Header=BB2_323 Depth=3
	v_bfe_u32 v73, v18, 16, 7
	v_mov_b32_e32 v44, 0x7f800001
	s_mov_b32 s20, exec_lo
	s_delay_alu instid0(VALU_DEP_2)
	v_cmpx_ne_u32_e32 0x7f, v73
	s_cbranch_execz .LBB2_717
; %bb.714:                              ;   in Loop: Header=BB2_323 Depth=3
	v_dual_mov_b32 v17, v65 :: v_dual_bitop2_b32 v16, 7, v45 bitop3:0x40
	v_lshrrev_b32_e32 v44, 3, v73
	s_mov_b32 s21, exec_lo
	v_cmpx_gt_u32_e32 8, v73
; %bb.715:                              ;   in Loop: Header=BB2_323 Depth=3
	s_delay_alu instid0(VALU_DEP_3) | instskip(NEXT) | instid1(VALU_DEP_1)
	v_clz_i32_u32_e32 v44, v16
	v_min_u32_e32 v44, 32, v44
	s_delay_alu instid0(VALU_DEP_1) | instskip(SKIP_1) | instid1(VALU_DEP_2)
	v_subrev_nc_u32_e32 v73, 28, v44
	v_sub_nc_u32_e32 v44, 29, v44
	v_lshlrev_b64_e32 v[16:17], v73, v[16:17]
	s_delay_alu instid0(VALU_DEP_1)
	v_and_b32_e32 v16, 7, v16
; %bb.716:                              ;   in Loop: Header=BB2_323 Depth=3
	s_or_b32 exec_lo, exec_lo, s21
	s_delay_alu instid0(VALU_DEP_1) | instskip(SKIP_1) | instid1(VALU_DEP_2)
	v_dual_lshlrev_b32 v17, 24, v45 :: v_dual_lshlrev_b32 v16, 20, v16
	v_lshl_add_u32 v44, v44, 23, 0x3c000000
	v_and_b32_e32 v17, 0x80000000, v17
	s_delay_alu instid0(VALU_DEP_1)
	v_or3_b32 v44, v16, v17, v44
.LBB2_717:                              ;   in Loop: Header=BB2_323 Depth=3
	s_or_b32 exec_lo, exec_lo, s20
.LBB2_718:                              ;   in Loop: Header=BB2_323 Depth=3
	s_delay_alu instid0(SALU_CYCLE_1)
	s_or_b32 exec_lo, exec_lo, s19
.LBB2_719:                              ;   in Loop: Header=BB2_323 Depth=3
	s_delay_alu instid0(SALU_CYCLE_1) | instskip(SKIP_2) | instid1(VALU_DEP_1)
	s_or_b32 exec_lo, exec_lo, s8
	v_lshrrev_b32_e32 v16, 16, v4
	s_mov_b32 s8, exec_lo
	v_and_b32_e32 v17, 0xff, v16
	s_delay_alu instid0(VALU_DEP_1)
	v_cmpx_ne_u16_e32 0, v17
	s_cbranch_execz .LBB2_727
; %bb.720:                              ;   in Loop: Header=BB2_323 Depth=3
	v_bfrev_b32_e32 v5, 1
	s_mov_b32 s19, exec_lo
	v_cmpx_ne_u16_e32 0x80, v17
	s_cbranch_execz .LBB2_726
; %bb.721:                              ;   in Loop: Header=BB2_323 Depth=3
	v_bfe_u32 v45, v4, 16, 7
	v_mov_b32_e32 v5, 0x7f800001
	s_mov_b32 s20, exec_lo
	s_delay_alu instid0(VALU_DEP_2)
	v_cmpx_ne_u32_e32 0x7f, v45
	s_cbranch_execz .LBB2_725
; %bb.722:                              ;   in Loop: Header=BB2_323 Depth=3
	v_dual_mov_b32 v17, v65 :: v_dual_bitop2_b32 v16, 7, v16 bitop3:0x40
	v_lshrrev_b32_e32 v5, 3, v45
	s_mov_b32 s21, exec_lo
	v_cmpx_gt_u32_e32 8, v45
; %bb.723:                              ;   in Loop: Header=BB2_323 Depth=3
	s_delay_alu instid0(VALU_DEP_3) | instskip(NEXT) | instid1(VALU_DEP_1)
	v_clz_i32_u32_e32 v5, v16
	v_min_u32_e32 v5, 32, v5
	s_delay_alu instid0(VALU_DEP_1) | instskip(NEXT) | instid1(VALU_DEP_1)
	v_subrev_nc_u32_e32 v45, 28, v5
	v_lshlrev_b64_e32 v[16:17], v45, v[16:17]
	s_delay_alu instid0(VALU_DEP_1)
	v_dual_sub_nc_u32 v5, 29, v5 :: v_dual_bitop2_b32 v16, 7, v16 bitop3:0x40
; %bb.724:                              ;   in Loop: Header=BB2_323 Depth=3
	s_or_b32 exec_lo, exec_lo, s21
	v_lshlrev_b32_e32 v17, 8, v4
	s_delay_alu instid0(VALU_DEP_2) | instskip(NEXT) | instid1(VALU_DEP_3)
	v_lshlrev_b32_e32 v16, 20, v16
	v_lshl_add_u32 v5, v5, 23, 0x3c000000
	s_delay_alu instid0(VALU_DEP_3) | instskip(NEXT) | instid1(VALU_DEP_1)
	v_and_b32_e32 v17, 0x80000000, v17
	v_or3_b32 v5, v16, v17, v5
.LBB2_725:                              ;   in Loop: Header=BB2_323 Depth=3
	s_or_b32 exec_lo, exec_lo, s20
.LBB2_726:                              ;   in Loop: Header=BB2_323 Depth=3
	s_delay_alu instid0(SALU_CYCLE_1)
	s_or_b32 exec_lo, exec_lo, s19
.LBB2_727:                              ;   in Loop: Header=BB2_323 Depth=3
	s_delay_alu instid0(SALU_CYCLE_1) | instskip(NEXT) | instid1(VALU_DEP_1)
	s_or_b32 exec_lo, exec_lo, s8
	v_dual_add_f32 v16, v44, v5 :: v_dual_mov_b32 v45, v65
	s_delay_alu instid0(VALU_DEP_1) | instskip(SKIP_1) | instid1(VALU_DEP_2)
	v_and_b32_e32 v44, 0x7f800000, v16
	v_lshrrev_b32_e32 v5, 24, v16
	v_cmp_ne_u64_e32 vcc_lo, 0x7f800000, v[44:45]
                                        ; implicit-def: $vgpr44
	s_and_saveexec_b32 s8, vcc_lo
	s_delay_alu instid0(SALU_CYCLE_1)
	s_xor_b32 s19, exec_lo, s8
	s_cbranch_execz .LBB2_741
; %bb.728:                              ;   in Loop: Header=BB2_323 Depth=3
	v_and_b32_e32 v44, 0x7fffffff, v16
	v_mov_b32_e32 v45, v65
	v_and_b32_e32 v5, 0x80, v5
	s_delay_alu instid0(VALU_DEP_2) | instskip(SKIP_1) | instid1(SALU_CYCLE_1)
	v_cmp_gt_u64_e32 vcc_lo, 0x43e00001, v[44:45]
                                        ; implicit-def: $vgpr44
	s_and_saveexec_b32 s8, vcc_lo
	s_xor_b32 s20, exec_lo, s8
	s_cbranch_execz .LBB2_738
; %bb.729:                              ;   in Loop: Header=BB2_323 Depth=3
	v_mov_b32_e32 v44, 0
	s_mov_b32 s21, exec_lo
	v_cmpx_ne_u32_e32 0, v16
	s_cbranch_execz .LBB2_737
; %bb.730:                              ;   in Loop: Header=BB2_323 Depth=3
	v_bfe_u32 v73, v16, 23, 8
	v_and_b32_e32 v44, 0x7fffff, v16
	s_mov_b32 s22, exec_lo
	s_delay_alu instid0(VALU_DEP_2) | instskip(NEXT) | instid1(VALU_DEP_2)
	v_cmp_gt_u32_e32 vcc_lo, 0x7a, v73
	v_or_b32_e32 v45, 0x800000, v44
	v_sub_nc_u32_e32 v17, 0x79, v73
	s_delay_alu instid0(VALU_DEP_1) | instskip(SKIP_1) | instid1(VALU_DEP_2)
	v_cndmask_b32_e32 v17, 0, v17, vcc_lo
	v_cmp_eq_u32_e32 vcc_lo, 0, v73
	v_cndmask_b32_e64 v74, v17, 0x78, vcc_lo
	v_cndmask_b32_e32 v44, v45, v44, vcc_lo
	s_delay_alu instid0(VALU_DEP_2) | instskip(SKIP_1) | instid1(VALU_DEP_2)
	v_dual_mov_b32 v45, v65 :: v_dual_add_nc_u32 v75, 19, v74
	v_add_nc_u32_e32 v16, 20, v74
	v_lshlrev_b64_e64 v[76:77], v75, 1
	s_delay_alu instid0(VALU_DEP_2) | instskip(NEXT) | instid1(VALU_DEP_1)
	v_lshlrev_b64_e64 v[16:17], v16, -1
	v_bfi_b32 v79, v17, 0, 0
	s_delay_alu instid0(VALU_DEP_2) | instskip(SKIP_1) | instid1(VALU_DEP_1)
	v_bfi_b32 v78, v16, 0, v44
	v_lshrrev_b64 v[16:17], v74, v[44:45]
	v_mov_b64_e32 v[44:45], v[16:17]
	s_delay_alu instid0(VALU_DEP_3)
	v_cmpx_eq_u64_e64 v[78:79], v[76:77]
; %bb.731:                              ;   in Loop: Header=BB2_323 Depth=3
	v_bfe_u32 v44, v16, 20, 1
	v_mov_b32_e32 v45, v65
	s_delay_alu instid0(VALU_DEP_1) | instskip(NEXT) | instid1(VALU_DEP_1)
	v_add_nc_u64_e32 v[44:45], v[16:17], v[44:45]
	v_add_nc_u64_e32 v[44:45], -1, v[44:45]
; %bb.732:                              ;   in Loop: Header=BB2_323 Depth=3
	s_or_b32 exec_lo, exec_lo, s22
	v_add_nc_u32_e32 v17, 0xffffff81, v73
	v_lshrrev_b32_e32 v45, 23, v16
	s_mov_b32 s8, exec_lo
	s_delay_alu instid0(VALU_DEP_2) | instskip(NEXT) | instid1(VALU_DEP_1)
	v_cndmask_b32_e64 v17, v17, 0xffffff82, vcc_lo
	v_add3_u32 v45, v74, v17, v45
	v_and_b32_e32 v17, 0xfffff, v44
                                        ; implicit-def: $vgpr44
	s_delay_alu instid0(VALU_DEP_1) | instskip(SKIP_1) | instid1(VALU_DEP_2)
	v_dual_add_nc_u32 v73, 6, v45 :: v_dual_add_nc_u32 v16, v17, v16
	v_mov_b32_e32 v17, v65
	v_cmpx_ne_u32_e32 0, v73
	s_xor_b32 s8, exec_lo, s8
; %bb.733:                              ;   in Loop: Header=BB2_323 Depth=3
	s_delay_alu instid0(VALU_DEP_2) | instskip(SKIP_2) | instid1(VALU_DEP_2)
	v_cmp_lt_u64_e32 vcc_lo, 0xffffff, v[16:17]
	v_add_nc_u32_e32 v44, 7, v45
	v_cndmask_b32_e64 v45, 0, 1, vcc_lo
	v_cndmask_b32_e32 v44, v73, v44, vcc_lo
	s_delay_alu instid0(VALU_DEP_2)
	v_lshrrev_b64 v[16:17], v45, v[16:17]
; %bb.734:                              ;   in Loop: Header=BB2_323 Depth=3
	s_and_not1_saveexec_b32 s8, s8
; %bb.735:                              ;   in Loop: Header=BB2_323 Depth=3
	s_delay_alu instid0(VALU_DEP_1)
	v_bfe_u32 v44, v16, 23, 1
; %bb.736:                              ;   in Loop: Header=BB2_323 Depth=3
	s_or_b32 exec_lo, exec_lo, s8
	s_delay_alu instid0(VALU_DEP_2) | instskip(NEXT) | instid1(VALU_DEP_2)
	v_lshrrev_b64 v[16:17], 20, v[16:17]
	v_cmp_gt_i32_e32 vcc_lo, 16, v44
	v_min_i32_e32 v45, 15, v44
	v_cmp_eq_u32_e64 s8, 0, v44
	s_delay_alu instid0(VALU_DEP_4) | instskip(NEXT) | instid1(VALU_DEP_3)
	v_cndmask_b32_e32 v17, 0, v17, vcc_lo
	v_dual_cndmask_b32 v16, 7, v16 :: v_dual_lshlrev_b32 v45, 3, v45
	s_delay_alu instid0(VALU_DEP_1) | instskip(NEXT) | instid1(VALU_DEP_2)
	v_and_b32_e32 v45, 0xf8, v45
	v_cmp_eq_u64_e32 vcc_lo, 0, v[16:17]
	s_delay_alu instid0(VALU_DEP_2)
	v_and_or_b32 v16, v16, 7, v45
	s_and_b32 s8, s8, vcc_lo
	s_delay_alu instid0(VALU_DEP_1) | instid1(SALU_CYCLE_1)
	v_cndmask_b32_e64 v16, v16, 0, s8
	s_delay_alu instid0(VALU_DEP_1)
	v_or_b32_e32 v44, v16, v5
.LBB2_737:                              ;   in Loop: Header=BB2_323 Depth=3
	s_or_b32 exec_lo, exec_lo, s21
                                        ; implicit-def: $vgpr5
.LBB2_738:                              ;   in Loop: Header=BB2_323 Depth=3
	s_and_not1_saveexec_b32 s8, s20
; %bb.739:                              ;   in Loop: Header=BB2_323 Depth=3
	v_or_b32_e32 v44, 0x7e, v5
; %bb.740:                              ;   in Loop: Header=BB2_323 Depth=3
	s_or_b32 exec_lo, exec_lo, s8
                                        ; implicit-def: $vgpr5
.LBB2_741:                              ;   in Loop: Header=BB2_323 Depth=3
	s_and_not1_saveexec_b32 s8, s19
; %bb.742:                              ;   in Loop: Header=BB2_323 Depth=3
	v_or_b32_e32 v44, 0x7f, v5
; %bb.743:                              ;   in Loop: Header=BB2_323 Depth=3
	s_or_b32 exec_lo, exec_lo, s8
	v_and_b32_e32 v16, 0xff000000, v18
	v_dual_mov_b32 v17, v65 :: v_dual_mov_b32 v5, 0
	s_delay_alu instid0(VALU_DEP_1)
	v_cmp_ne_u64_e32 vcc_lo, 0, v[16:17]
	v_mov_b32_e32 v16, 0
	s_and_saveexec_b32 s8, vcc_lo
	s_cbranch_execz .LBB2_751
; %bb.744:                              ;   in Loop: Header=BB2_323 Depth=3
	v_lshrrev_b32_e32 v45, 24, v18
	v_bfrev_b32_e32 v16, 1
	s_mov_b32 s19, exec_lo
	s_delay_alu instid0(VALU_DEP_2)
	v_cmpx_ne_u32_e32 0x80, v45
	s_cbranch_execz .LBB2_750
; %bb.745:                              ;   in Loop: Header=BB2_323 Depth=3
	v_bfe_u32 v73, v18, 24, 7
	v_mov_b32_e32 v16, 0x7f800001
	s_mov_b32 s20, exec_lo
	s_delay_alu instid0(VALU_DEP_2)
	v_cmpx_ne_u32_e32 0x7f, v73
	s_cbranch_execz .LBB2_749
; %bb.746:                              ;   in Loop: Header=BB2_323 Depth=3
	v_dual_mov_b32 v17, v65 :: v_dual_bitop2_b32 v16, 7, v45 bitop3:0x40
	v_lshrrev_b32_e32 v18, 3, v73
	s_mov_b32 s21, exec_lo
	v_cmpx_gt_u32_e32 8, v73
; %bb.747:                              ;   in Loop: Header=BB2_323 Depth=3
	s_delay_alu instid0(VALU_DEP_3) | instskip(NEXT) | instid1(VALU_DEP_1)
	v_clz_i32_u32_e32 v18, v16
	v_min_u32_e32 v18, 32, v18
	s_delay_alu instid0(VALU_DEP_1) | instskip(NEXT) | instid1(VALU_DEP_1)
	v_subrev_nc_u32_e32 v73, 28, v18
	v_lshlrev_b64_e32 v[16:17], v73, v[16:17]
	s_delay_alu instid0(VALU_DEP_1)
	v_dual_sub_nc_u32 v18, 29, v18 :: v_dual_bitop2_b32 v16, 7, v16 bitop3:0x40
; %bb.748:                              ;   in Loop: Header=BB2_323 Depth=3
	s_or_b32 exec_lo, exec_lo, s21
	s_delay_alu instid0(VALU_DEP_1) | instskip(NEXT) | instid1(VALU_DEP_2)
	v_dual_lshlrev_b32 v17, 24, v45 :: v_dual_lshlrev_b32 v16, 20, v16
	v_lshl_add_u32 v18, v18, 23, 0x3c000000
	s_delay_alu instid0(VALU_DEP_2) | instskip(NEXT) | instid1(VALU_DEP_1)
	v_and_b32_e32 v17, 0x80000000, v17
	v_or3_b32 v16, v16, v17, v18
.LBB2_749:                              ;   in Loop: Header=BB2_323 Depth=3
	s_or_b32 exec_lo, exec_lo, s20
.LBB2_750:                              ;   in Loop: Header=BB2_323 Depth=3
	s_delay_alu instid0(SALU_CYCLE_1)
	s_or_b32 exec_lo, exec_lo, s19
.LBB2_751:                              ;   in Loop: Header=BB2_323 Depth=3
	s_delay_alu instid0(SALU_CYCLE_1) | instskip(NEXT) | instid1(SALU_CYCLE_1)
	s_or_b32 exec_lo, exec_lo, s8
	s_mov_b32 s8, exec_lo
	v_cmpx_lt_u32_e32 0xffffff, v4
	s_cbranch_execz .LBB2_759
; %bb.752:                              ;   in Loop: Header=BB2_323 Depth=3
	v_lshrrev_b32_e32 v17, 24, v4
	v_bfrev_b32_e32 v5, 1
	s_mov_b32 s19, exec_lo
	s_delay_alu instid0(VALU_DEP_2)
	v_cmpx_ne_u32_e32 0x80, v17
	s_cbranch_execz .LBB2_758
; %bb.753:                              ;   in Loop: Header=BB2_323 Depth=3
	v_bfe_u32 v45, v4, 24, 7
	v_mov_b32_e32 v5, 0x7f800001
	s_mov_b32 s20, exec_lo
	s_delay_alu instid0(VALU_DEP_2)
	v_cmpx_ne_u32_e32 0x7f, v45
	s_cbranch_execz .LBB2_757
; %bb.754:                              ;   in Loop: Header=BB2_323 Depth=3
	v_dual_mov_b32 v5, v65 :: v_dual_bitop2_b32 v4, 7, v17 bitop3:0x40
	v_lshrrev_b32_e32 v18, 3, v45
	s_mov_b32 s21, exec_lo
	v_cmpx_gt_u32_e32 8, v45
; %bb.755:                              ;   in Loop: Header=BB2_323 Depth=3
	s_delay_alu instid0(VALU_DEP_3) | instskip(NEXT) | instid1(VALU_DEP_1)
	v_clz_i32_u32_e32 v18, v4
	v_min_u32_e32 v18, 32, v18
	s_delay_alu instid0(VALU_DEP_1) | instskip(NEXT) | instid1(VALU_DEP_1)
	v_subrev_nc_u32_e32 v45, 28, v18
	v_lshlrev_b64_e32 v[4:5], v45, v[4:5]
	s_delay_alu instid0(VALU_DEP_1)
	v_dual_sub_nc_u32 v18, 29, v18 :: v_dual_bitop2_b32 v4, 7, v4 bitop3:0x40
; %bb.756:                              ;   in Loop: Header=BB2_323 Depth=3
	s_or_b32 exec_lo, exec_lo, s21
	s_delay_alu instid0(VALU_DEP_1) | instskip(NEXT) | instid1(VALU_DEP_2)
	v_dual_lshlrev_b32 v5, 24, v17 :: v_dual_lshlrev_b32 v4, 20, v4
	v_lshl_add_u32 v17, v18, 23, 0x3c000000
	s_delay_alu instid0(VALU_DEP_2) | instskip(NEXT) | instid1(VALU_DEP_1)
	v_and_b32_e32 v5, 0x80000000, v5
	v_or3_b32 v5, v4, v5, v17
.LBB2_757:                              ;   in Loop: Header=BB2_323 Depth=3
	s_or_b32 exec_lo, exec_lo, s20
.LBB2_758:                              ;   in Loop: Header=BB2_323 Depth=3
	s_delay_alu instid0(SALU_CYCLE_1)
	s_or_b32 exec_lo, exec_lo, s19
.LBB2_759:                              ;   in Loop: Header=BB2_323 Depth=3
	s_delay_alu instid0(SALU_CYCLE_1) | instskip(NEXT) | instid1(VALU_DEP_1)
	s_or_b32 exec_lo, exec_lo, s8
	v_dual_add_f32 v5, v16, v5 :: v_dual_mov_b32 v17, v65
                                        ; implicit-def: $vgpr4
	s_delay_alu instid0(VALU_DEP_1) | instskip(NEXT) | instid1(VALU_DEP_1)
	v_and_b32_e32 v16, 0x7f800000, v5
	v_cmp_ne_u64_e32 vcc_lo, 0x7f800000, v[16:17]
	v_lshrrev_b32_e32 v16, 24, v5
	s_and_saveexec_b32 s8, vcc_lo
	s_delay_alu instid0(SALU_CYCLE_1)
	s_xor_b32 s19, exec_lo, s8
	s_cbranch_execz .LBB2_773
; %bb.760:                              ;   in Loop: Header=BB2_323 Depth=3
	v_and_b32_e32 v74, 0x7fffffff, v5
	v_mov_b32_e32 v75, v65
	v_and_b32_e32 v18, 0x80, v16
                                        ; implicit-def: $vgpr4
	s_mov_b32 s8, exec_lo
	s_delay_alu instid0(VALU_DEP_2)
	v_cmpx_gt_u64_e32 0x43e00001, v[74:75]
	s_xor_b32 s20, exec_lo, s8
	s_cbranch_execz .LBB2_770
; %bb.761:                              ;   in Loop: Header=BB2_323 Depth=3
	v_mov_b32_e32 v4, 0
	s_mov_b32 s21, exec_lo
	v_cmpx_ne_u32_e32 0, v5
	s_cbranch_execz .LBB2_769
; %bb.762:                              ;   in Loop: Header=BB2_323 Depth=3
	v_bfe_u32 v45, v5, 23, 8
	v_and_b32_e32 v16, 0x7fffff, v5
	s_mov_b32 s22, exec_lo
	s_delay_alu instid0(VALU_DEP_2) | instskip(SKIP_1) | instid1(VALU_DEP_3)
	v_sub_nc_u32_e32 v4, 0x79, v45
	v_cmp_gt_u32_e32 vcc_lo, 0x7a, v45
	v_or_b32_e32 v17, 0x800000, v16
	s_delay_alu instid0(VALU_DEP_3) | instskip(SKIP_1) | instid1(VALU_DEP_2)
	v_cndmask_b32_e32 v4, 0, v4, vcc_lo
	v_cmp_eq_u32_e32 vcc_lo, 0, v45
	v_cndmask_b32_e64 v73, v4, 0x78, vcc_lo
	s_delay_alu instid0(VALU_DEP_4) | instskip(NEXT) | instid1(VALU_DEP_2)
	v_cndmask_b32_e32 v16, v17, v16, vcc_lo
	v_dual_mov_b32 v17, v65 :: v_dual_add_nc_u32 v4, 20, v73
	v_add_nc_u32_e32 v74, 19, v73
	s_delay_alu instid0(VALU_DEP_2) | instskip(NEXT) | instid1(VALU_DEP_2)
	v_lshlrev_b64_e64 v[4:5], v4, -1
	v_lshlrev_b64_e64 v[74:75], v74, 1
	s_delay_alu instid0(VALU_DEP_2) | instskip(NEXT) | instid1(VALU_DEP_3)
	v_bfi_b32 v77, v5, 0, 0
	v_bfi_b32 v76, v4, 0, v16
	v_lshrrev_b64 v[4:5], v73, v[16:17]
	s_delay_alu instid0(VALU_DEP_1) | instskip(NEXT) | instid1(VALU_DEP_3)
	v_mov_b64_e32 v[16:17], v[4:5]
	v_cmpx_eq_u64_e64 v[76:77], v[74:75]
; %bb.763:                              ;   in Loop: Header=BB2_323 Depth=3
	v_bfe_u32 v16, v4, 20, 1
	v_mov_b32_e32 v17, v65
	s_delay_alu instid0(VALU_DEP_1) | instskip(NEXT) | instid1(VALU_DEP_1)
	v_add_nc_u64_e32 v[16:17], v[4:5], v[16:17]
	v_add_nc_u64_e32 v[16:17], -1, v[16:17]
; %bb.764:                              ;   in Loop: Header=BB2_323 Depth=3
	s_or_b32 exec_lo, exec_lo, s22
	v_add_nc_u32_e32 v5, 0xffffff81, v45
	v_lshrrev_b32_e32 v17, 23, v4
	s_mov_b32 s8, exec_lo
	s_delay_alu instid0(VALU_DEP_2) | instskip(NEXT) | instid1(VALU_DEP_1)
	v_cndmask_b32_e64 v5, v5, 0xffffff82, vcc_lo
	v_add3_u32 v17, v73, v5, v17
	v_and_b32_e32 v5, 0xfffff, v16
                                        ; implicit-def: $vgpr16
	s_delay_alu instid0(VALU_DEP_1) | instskip(SKIP_1) | instid1(VALU_DEP_2)
	v_dual_add_nc_u32 v45, 6, v17 :: v_dual_add_nc_u32 v4, v5, v4
	v_mov_b32_e32 v5, v65
	v_cmpx_ne_u32_e32 0, v45
	s_xor_b32 s8, exec_lo, s8
; %bb.765:                              ;   in Loop: Header=BB2_323 Depth=3
	s_delay_alu instid0(VALU_DEP_2) | instskip(SKIP_2) | instid1(VALU_DEP_2)
	v_cmp_lt_u64_e32 vcc_lo, 0xffffff, v[4:5]
	v_add_nc_u32_e32 v16, 7, v17
	v_cndmask_b32_e64 v17, 0, 1, vcc_lo
	v_cndmask_b32_e32 v16, v45, v16, vcc_lo
	s_delay_alu instid0(VALU_DEP_2)
	v_lshrrev_b64 v[4:5], v17, v[4:5]
; %bb.766:                              ;   in Loop: Header=BB2_323 Depth=3
	s_and_not1_saveexec_b32 s8, s8
; %bb.767:                              ;   in Loop: Header=BB2_323 Depth=3
	s_delay_alu instid0(VALU_DEP_1)
	v_bfe_u32 v16, v4, 23, 1
; %bb.768:                              ;   in Loop: Header=BB2_323 Depth=3
	s_or_b32 exec_lo, exec_lo, s8
	s_delay_alu instid0(VALU_DEP_2) | instskip(NEXT) | instid1(VALU_DEP_2)
	v_lshrrev_b64 v[4:5], 20, v[4:5]
	v_cmp_gt_i32_e32 vcc_lo, 16, v16
	v_min_i32_e32 v17, 15, v16
	v_cmp_eq_u32_e64 s8, 0, v16
	s_delay_alu instid0(VALU_DEP_4) | instskip(NEXT) | instid1(VALU_DEP_3)
	v_cndmask_b32_e32 v5, 0, v5, vcc_lo
	v_dual_cndmask_b32 v4, 7, v4 :: v_dual_lshlrev_b32 v17, 3, v17
	s_delay_alu instid0(VALU_DEP_1) | instskip(NEXT) | instid1(VALU_DEP_2)
	v_and_b32_e32 v17, 0xf8, v17
	v_cmp_eq_u64_e32 vcc_lo, 0, v[4:5]
	s_delay_alu instid0(VALU_DEP_2)
	v_and_or_b32 v4, v4, 7, v17
	s_and_b32 s8, s8, vcc_lo
	s_delay_alu instid0(VALU_DEP_1) | instid1(SALU_CYCLE_1)
	v_cndmask_b32_e64 v4, v4, 0, s8
	s_delay_alu instid0(VALU_DEP_1)
	v_or_b32_e32 v4, v4, v18
.LBB2_769:                              ;   in Loop: Header=BB2_323 Depth=3
	s_or_b32 exec_lo, exec_lo, s21
                                        ; implicit-def: $vgpr18
.LBB2_770:                              ;   in Loop: Header=BB2_323 Depth=3
	s_and_not1_saveexec_b32 s8, s20
; %bb.771:                              ;   in Loop: Header=BB2_323 Depth=3
	v_or_b32_e32 v4, 0x7e, v18
; %bb.772:                              ;   in Loop: Header=BB2_323 Depth=3
	s_or_b32 exec_lo, exec_lo, s8
                                        ; implicit-def: $vgpr16
.LBB2_773:                              ;   in Loop: Header=BB2_323 Depth=3
	s_and_not1_saveexec_b32 s8, s19
	s_cbranch_execz .LBB2_322
; %bb.774:                              ;   in Loop: Header=BB2_323 Depth=3
	v_or_b32_e32 v4, 0x7f, v16
	s_branch .LBB2_322
.LBB2_775:                              ;   in Loop: Header=BB2_279 Depth=2
	s_or_b32 exec_lo, exec_lo, s18
	s_delay_alu instid0(SALU_CYCLE_1)
	s_or_b32 exec_lo, exec_lo, s17
	s_and_saveexec_b32 s8, s3
	s_cbranch_execz .LBB2_316
.LBB2_776:                              ;   in Loop: Header=BB2_279 Depth=2
	s_and_saveexec_b32 s17, s4
	s_delay_alu instid0(SALU_CYCLE_1)
	s_xor_b32 s17, exec_lo, s17
	s_cbranch_execz .LBB2_791
; %bb.777:                              ;   in Loop: Header=BB2_279 Depth=2
	s_and_saveexec_b32 s18, s5
	s_cbranch_execz .LBB2_790
; %bb.778:                              ;   in Loop: Header=BB2_279 Depth=2
	s_mov_b32 s20, exec_lo
	s_mov_b32 s19, exec_lo
	v_mbcnt_lo_u32_b32 v2, s20, 0
	global_wb scope:SCOPE_DEV
	s_wait_storecnt 0x0
	s_wait_loadcnt_dscnt 0x0
	global_inv scope:SCOPE_DEV
	v_cmpx_eq_u32_e32 0, v2
	s_cbranch_execz .LBB2_780
; %bb.779:                              ;   in Loop: Header=BB2_279 Depth=2
	s_bcnt1_i32_b32 s20, s20
	s_delay_alu instid0(SALU_CYCLE_1)
	v_dual_mov_b32 v5, v65 :: v_dual_mov_b32 v4, s20
	s_wait_loadcnt 0x0
	ds_add_u64 v0, v[4:5]
	s_trap 2
.LBB2_780:                              ;   in Loop: Header=BB2_279 Depth=2
	s_or_b32 exec_lo, exec_lo, s19
	s_trap 2
	ds_load_b64 v[4:5], v0
	s_wait_dscnt 0x0
	v_add_nc_u64_e32 v[52:53], v[52:53], v[82:83]
	s_mov_b32 s19, exec_lo
	s_delay_alu instid0(VALU_DEP_1)
	v_cmpx_lt_u64_e64 v[4:5], v[52:53]
	s_cbranch_execz .LBB2_789
; %bb.781:                              ;   in Loop: Header=BB2_279 Depth=2
	s_mov_b32 s20, 0
	s_mov_b32 s23, 0
                                        ; implicit-def: $sgpr21
                                        ; implicit-def: $sgpr22
	s_branch .LBB2_783
.LBB2_782:                              ;   in Loop: Header=BB2_783 Depth=3
	s_or_b32 exec_lo, exec_lo, s25
	s_delay_alu instid0(SALU_CYCLE_1) | instskip(NEXT) | instid1(SALU_CYCLE_1)
	s_and_b32 s24, exec_lo, s26
	s_or_b32 s20, s24, s20
	s_and_not1_b32 s21, s21, exec_lo
	s_and_b32 s24, s22, exec_lo
	s_delay_alu instid0(SALU_CYCLE_1)
	s_or_b32 s21, s21, s24
	s_and_not1_b32 exec_lo, exec_lo, s20
	s_cbranch_execz .LBB2_787
.LBB2_783:                              ;   Parent Loop BB2_42 Depth=1
                                        ;     Parent Loop BB2_279 Depth=2
                                        ; =>    This Inner Loop Header: Depth=3
	s_add_co_i32 s23, s23, 1
	s_delay_alu instid0(SALU_CYCLE_1) | instskip(SKIP_1) | instid1(SALU_CYCLE_1)
	s_cmp_lg_u32 s23, 0x2710
	s_cselect_b32 s24, -1, 0
	s_and_b32 vcc_lo, exec_lo, s24
	s_cbranch_vccz .LBB2_785
; %bb.784:                              ;   in Loop: Header=BB2_783 Depth=3
	s_mov_b32 s26, -1
	s_or_b32 s22, s22, exec_lo
	s_and_saveexec_b32 s25, s24
	s_cbranch_execz .LBB2_782
	s_branch .LBB2_786
.LBB2_785:                              ;   in Loop: Header=BB2_783 Depth=3
	s_trap 2
	ds_load_b64 v[4:5], v0
	s_and_not1_b32 s24, s24, exec_lo
	s_mov_b32 s23, 0
	s_wait_loadcnt_dscnt 0x0
	flat_load_b32 v2, v[4:5] scope:SCOPE_SYS
	s_wait_loadcnt_dscnt 0x0
	global_inv scope:SCOPE_SYS
	v_cmp_eq_u32_e32 vcc_lo, 0, v2
	s_and_b32 s25, vcc_lo, exec_lo
	s_delay_alu instid0(SALU_CYCLE_1)
	s_or_b32 s24, s24, s25
	s_mov_b32 s26, -1
	s_or_b32 s22, s22, exec_lo
	s_and_saveexec_b32 s25, s24
	s_cbranch_execz .LBB2_782
.LBB2_786:                              ;   in Loop: Header=BB2_783 Depth=3
	s_sleep 1
	s_trap 2
	ds_load_b64 v[4:5], v0
	s_wait_dscnt 0x0
	s_and_not1_b32 s22, s22, exec_lo
	v_cmp_ge_u64_e32 vcc_lo, v[4:5], v[52:53]
	s_or_not1_b32 s26, vcc_lo, exec_lo
	s_branch .LBB2_782
.LBB2_787:                              ;   in Loop: Header=BB2_279 Depth=2
	s_or_b32 exec_lo, exec_lo, s20
	s_and_saveexec_b32 s20, s21
	s_delay_alu instid0(SALU_CYCLE_1)
	s_xor_b32 s20, exec_lo, s20
	s_cbranch_execz .LBB2_789
; %bb.788:                              ;   in Loop: Header=BB2_279 Depth=2
	ds_store_b32 v0, v1
	s_trap 2
.LBB2_789:                              ;   in Loop: Header=BB2_279 Depth=2
	s_or_b32 exec_lo, exec_lo, s19
	;;#ASMSTART
	s_wakeup
	;;#ASMEND
.LBB2_790:                              ;   in Loop: Header=BB2_279 Depth=2
	s_or_b32 exec_lo, exec_lo, s18
.LBB2_791:                              ;   in Loop: Header=BB2_279 Depth=2
	s_and_not1_saveexec_b32 s17, s17
	s_cbranch_execz .LBB2_793
; %bb.792:                              ;   in Loop: Header=BB2_279 Depth=2
	global_wb scope:SCOPE_DEV
	s_wait_storecnt 0x0
	s_wait_loadcnt_dscnt 0x0
	global_inv scope:SCOPE_DEV
	s_barrier_signal -1
	s_barrier_wait -1
.LBB2_793:                              ;   in Loop: Header=BB2_279 Depth=2
	s_or_b32 exec_lo, exec_lo, s17
	s_delay_alu instid0(SALU_CYCLE_1)
	s_or_b32 exec_lo, exec_lo, s8
	s_and_saveexec_b32 s8, s6
	s_cbranch_execnz .LBB2_317
	s_branch .LBB2_318
.LBB2_794:                              ;   in Loop: Header=BB2_42 Depth=1
	s_delay_alu instid0(VALU_DEP_1)
	v_mov_b64_e32 v[16:17], v[114:115]
	s_and_saveexec_b32 s8, s7
	s_cbranch_execnz .LBB2_797
; %bb.795:                              ;   in Loop: Header=BB2_42 Depth=1
	s_or_b32 exec_lo, exec_lo, s8
	s_and_saveexec_b32 s7, s3
	s_cbranch_execnz .LBB2_1270
.LBB2_796:                              ;   in Loop: Header=BB2_42 Depth=1
	s_or_b32 exec_lo, exec_lo, s7
	s_and_saveexec_b32 s7, s6
	s_cbranch_execz .LBB2_41
	s_branch .LBB2_1288
.LBB2_797:                              ;   in Loop: Header=BB2_42 Depth=1
	flat_load_b32 v4, v[22:23]
	v_add_nc_u64_e32 v[2:3], v[10:11], v[112:113]
	v_dual_mov_b32 v116, v0 :: v_dual_bitop2_b32 v5, 7, v34 bitop3:0x40
	s_mov_b32 s16, 0
	v_add_nc_u32_e32 v42, 1, v34
	s_wait_loadcnt_dscnt 0x0
	s_delay_alu instid0(VALU_DEP_3) | instskip(SKIP_1) | instid1(VALU_DEP_2)
	v_mad_nc_u64_u32 v[2:3], v68, v4, v[2:3]
	v_ashrrev_i32_e32 v18, 31, v4
	v_mad_u32 v3, v69, v4, v3
	v_mul_lo_u32 v4, v5, s13
	s_delay_alu instid0(VALU_DEP_2) | instskip(NEXT) | instid1(VALU_DEP_2)
	v_mad_u32 v3, v68, v18, v3
	v_ashrrev_i32_e32 v5, 31, v4
	v_add_nc_u64_e32 v[18:19], v[8:9], v[112:113]
	s_delay_alu instid0(VALU_DEP_2) | instskip(NEXT) | instid1(VALU_DEP_4)
	v_lshl_add_u64 v[114:115], v[4:5], 4, v[32:33]
	v_add_nc_u64_e32 v[112:113], v[2:3], v[84:85]
	s_branch .LBB2_799
.LBB2_798:                              ;   in Loop: Header=BB2_799 Depth=2
	v_dual_sub_nc_u32 v58, v58, v86 :: v_dual_add_nc_u32 v116, v116, v20
	v_add_nc_u64_e32 v[112:113], v[112:113], v[86:87]
	s_wait_xcnt 0x0
	v_add_nc_u64_e32 v[18:19], v[18:19], v[86:87]
	s_delay_alu instid0(VALU_DEP_3) | instskip(SKIP_1) | instid1(SALU_CYCLE_1)
	v_cmp_gt_i32_e32 vcc_lo, 1, v58
	s_or_b32 s16, vcc_lo, s16
	s_and_not1_b32 exec_lo, exec_lo, s16
	s_cbranch_execz .LBB2_1269
.LBB2_799:                              ;   Parent Loop BB2_42 Depth=1
                                        ; =>  This Loop Header: Depth=2
                                        ;       Child Loop BB2_807 Depth 3
	s_delay_alu instid0(VALU_DEP_1)
	v_dual_mov_b32 v3, v113 :: v_dual_bitop2_b32 v2, -4, v112 bitop3:0x40
	v_min_u32_e32 v4, 8, v58
	v_dual_mov_b32 v43, 0 :: v_dual_bitop2_b32 v5, 3, v112 bitop3:0x40
	v_mov_b32_e32 v45, 0
	global_load_b32 v40, v[2:3], off th:TH_LOAD_NT
	s_mov_b32 s7, exec_lo
	v_add_nc_u32_e32 v64, v5, v4
	s_wait_xcnt 0x0
	s_delay_alu instid0(VALU_DEP_1)
	v_cmpx_lt_u32_e32 4, v64
	s_cbranch_execz .LBB2_801
; %bb.800:                              ;   in Loop: Header=BB2_799 Depth=2
	global_load_b32 v45, v[2:3], off offset:4 th:TH_LOAD_NT
.LBB2_801:                              ;   in Loop: Header=BB2_799 Depth=2
	s_wait_xcnt 0x0
	s_or_b32 exec_lo, exec_lo, s7
	s_delay_alu instid0(SALU_CYCLE_1)
	s_mov_b32 s7, exec_lo
	v_cmpx_lt_u64_e32 8, v[64:65]
	s_cbranch_execz .LBB2_803
; %bb.802:                              ;   in Loop: Header=BB2_799 Depth=2
	global_load_b32 v43, v[2:3], off offset:8 th:TH_LOAD_NT
.LBB2_803:                              ;   in Loop: Header=BB2_799 Depth=2
	s_wait_xcnt 0x0
	s_or_b32 exec_lo, exec_lo, s7
	v_mov_b32_e32 v117, v65
	v_cmp_eq_u32_e32 vcc_lo, 0, v21
	v_mov_b32_e32 v21, 1
	s_delay_alu instid0(VALU_DEP_3)
	v_lshl_add_u64 v[118:119], v[116:117], 4, v[114:115]
	global_load_b128 v[2:5], v[118:119], off th:TH_LOAD_NT
	s_wait_xcnt 0x0
	s_and_saveexec_b32 s17, vcc_lo
	s_cbranch_execz .LBB2_815
; %bb.804:                              ;   in Loop: Header=BB2_799 Depth=2
	s_wait_loadcnt 0x0
	v_cmp_ne_u32_e32 vcc_lo, v42, v3
	v_cmp_ne_u32_e64 s7, v42, v5
	v_mov_b32_e32 v21, 0
	s_or_b32 s7, vcc_lo, s7
	s_delay_alu instid0(SALU_CYCLE_1)
	s_and_saveexec_b32 s18, s7
	s_cbranch_execz .LBB2_814
; %bb.805:                              ;   in Loop: Header=BB2_799 Depth=2
	s_mov_b32 s22, 1
	s_mov_b32 s20, 0
                                        ; implicit-def: $sgpr19
                                        ; implicit-def: $sgpr21
	s_branch .LBB2_807
.LBB2_806:                              ;   in Loop: Header=BB2_807 Depth=3
	s_or_b32 exec_lo, exec_lo, s24
	s_delay_alu instid0(SALU_CYCLE_1) | instskip(NEXT) | instid1(SALU_CYCLE_1)
	s_and_b32 s7, exec_lo, s7
	s_or_b32 s20, s7, s20
	s_and_not1_b32 s7, s19, exec_lo
	s_and_b32 s19, s21, exec_lo
	s_delay_alu instid0(SALU_CYCLE_1)
	s_or_b32 s19, s7, s19
	s_and_not1_b32 exec_lo, exec_lo, s20
	s_cbranch_execz .LBB2_811
.LBB2_807:                              ;   Parent Loop BB2_42 Depth=1
                                        ;     Parent Loop BB2_799 Depth=2
                                        ; =>    This Inner Loop Header: Depth=3
	s_wait_loadcnt 0x0
	global_load_b128 v[2:5], v[118:119], off th:TH_LOAD_NT
	s_add_co_i32 s22, s22, 1
	s_mov_b32 s7, -1
	s_cmp_lg_u32 s22, 0x2710
	s_mov_b32 s23, -1
                                        ; implicit-def: $vgpr64
	s_cbranch_scc0 .LBB2_809
; %bb.808:                              ;   in Loop: Header=BB2_807 Depth=3
	s_or_b32 s21, s21, exec_lo
	s_wait_xcnt 0x0
	s_and_saveexec_b32 s24, s23
	s_cbranch_execz .LBB2_806
	s_branch .LBB2_810
.LBB2_809:                              ;   in Loop: Header=BB2_807 Depth=3
	s_trap 2
	ds_load_b64 v[46:47], v0
	s_mov_b32 s22, 0
	s_wait_storecnt 0x0
	s_wait_loadcnt_dscnt 0x0
	flat_load_b32 v64, v[46:47] scope:SCOPE_SYS
	s_wait_loadcnt_dscnt 0x0
	global_inv scope:SCOPE_SYS
	v_cmp_eq_u32_e32 vcc_lo, 0, v64
	s_or_not1_b32 s23, vcc_lo, exec_lo
	s_or_b32 s21, s21, exec_lo
	s_wait_xcnt 0x0
	s_and_saveexec_b32 s24, s23
	s_cbranch_execz .LBB2_806
.LBB2_810:                              ;   in Loop: Header=BB2_807 Depth=3
	s_wait_loadcnt 0x0
	v_cmp_eq_u32_e32 vcc_lo, v42, v3
	v_cmp_eq_u32_e64 s7, v42, v5
	s_and_not1_b32 s21, s21, exec_lo
	s_and_b32 s7, vcc_lo, s7
	s_delay_alu instid0(SALU_CYCLE_1)
	s_or_not1_b32 s7, s7, exec_lo
	s_branch .LBB2_806
.LBB2_811:                              ;   in Loop: Header=BB2_799 Depth=2
	s_or_b32 exec_lo, exec_lo, s20
	v_mov_b32_e32 v21, 0
	s_and_saveexec_b32 s7, s19
	s_delay_alu instid0(SALU_CYCLE_1)
	s_xor_b32 s7, exec_lo, s7
	s_cbranch_execz .LBB2_813
; %bb.812:                              ;   in Loop: Header=BB2_799 Depth=2
	v_mov_b32_e32 v21, 1
	s_wait_loadcnt 0x0
	s_wait_storecnt 0x0
	ds_store_b32 v0, v64
	s_trap 2
.LBB2_813:                              ;   in Loop: Header=BB2_799 Depth=2
	s_or_b32 exec_lo, exec_lo, s7
.LBB2_814:                              ;   in Loop: Header=BB2_799 Depth=2
	s_delay_alu instid0(SALU_CYCLE_1)
	s_or_b32 exec_lo, exec_lo, s18
.LBB2_815:                              ;   in Loop: Header=BB2_799 Depth=2
	s_delay_alu instid0(SALU_CYCLE_1) | instskip(SKIP_3) | instid1(VALU_DEP_1)
	s_or_b32 exec_lo, exec_lo, s17
	v_dual_mov_b32 v117, 0 :: v_dual_lshlrev_b32 v46, 3, v112
	s_mov_b32 s7, exec_lo
	s_wait_loadcnt 0x1
	v_alignbit_b32 v64, v45, v40, v46
	s_delay_alu instid0(VALU_DEP_1) | instskip(NEXT) | instid1(VALU_DEP_1)
	v_and_b32_e32 v118, 0xff, v64
	v_cmpx_ne_u16_e32 0, v118
	s_cbranch_execz .LBB2_821
; %bb.816:                              ;   in Loop: Header=BB2_799 Depth=2
	v_bfrev_b32_e32 v117, 1
	s_mov_b32 s17, exec_lo
	v_cmpx_ne_u16_e32 0x80, v118
	s_cbranch_execz .LBB2_820
; %bb.817:                              ;   in Loop: Header=BB2_799 Depth=2
	v_and_b32_e32 v118, 0x7f, v64
	v_mov_b32_e32 v117, 0x7f800001
	s_mov_b32 s18, exec_lo
	s_delay_alu instid0(VALU_DEP_2)
	v_cmpx_ne_u32_e32 0x7f, v118
	s_cbranch_execz .LBB2_819
; %bb.818:                              ;   in Loop: Header=BB2_799 Depth=2
	v_dual_lshrrev_b32 v119, 3, v118 :: v_dual_bitop2_b32 v117, 7, v64 bitop3:0x40
	v_cmp_gt_u32_e32 vcc_lo, 8, v118
	s_delay_alu instid0(VALU_DEP_2) | instskip(NEXT) | instid1(VALU_DEP_1)
	v_clz_i32_u32_e32 v117, v117
	v_min_u32_e32 v117, 32, v117
	s_delay_alu instid0(VALU_DEP_1) | instskip(NEXT) | instid1(VALU_DEP_1)
	v_subrev_nc_u32_e32 v40, 28, v117
	v_dual_cndmask_b32 v118, 0, v40 :: v_dual_sub_nc_u32 v117, 29, v117
	s_delay_alu instid0(VALU_DEP_1) | instskip(NEXT) | instid1(VALU_DEP_2)
	v_cndmask_b32_e32 v117, v119, v117, vcc_lo
	v_lshlrev_b64_e32 v[118:119], v118, v[64:65]
	v_lshlrev_b32_e32 v119, 24, v64
	s_delay_alu instid0(VALU_DEP_3) | instskip(NEXT) | instid1(VALU_DEP_2)
	v_lshl_add_u32 v117, v117, 23, 0x3c000000
	v_and_b32_e32 v119, 0x80000000, v119
	s_delay_alu instid0(VALU_DEP_4) | instskip(NEXT) | instid1(VALU_DEP_1)
	v_lshlrev_b32_e32 v118, 20, v118
	v_and_b32_e32 v118, 0x700000, v118
	s_delay_alu instid0(VALU_DEP_1)
	v_or3_b32 v117, v118, v119, v117
.LBB2_819:                              ;   in Loop: Header=BB2_799 Depth=2
	s_or_b32 exec_lo, exec_lo, s18
.LBB2_820:                              ;   in Loop: Header=BB2_799 Depth=2
	s_delay_alu instid0(SALU_CYCLE_1)
	s_or_b32 exec_lo, exec_lo, s17
.LBB2_821:                              ;   in Loop: Header=BB2_799 Depth=2
	s_delay_alu instid0(SALU_CYCLE_1) | instskip(NEXT) | instid1(VALU_DEP_1)
	s_or_b32 exec_lo, exec_lo, s7
	v_dual_mul_f32 v118, v30, v117 :: v_dual_mov_b32 v41, v65
                                        ; implicit-def: $vgpr117
	s_mov_b32 s7, exec_lo
	s_delay_alu instid0(VALU_DEP_1) | instskip(SKIP_1) | instid1(VALU_DEP_2)
	v_and_b32_e32 v40, 0x7f800000, v118
	v_lshrrev_b32_e32 v119, 24, v118
	v_cmpx_ne_u64_e32 0x7f800000, v[40:41]
	s_xor_b32 s17, exec_lo, s7
	s_cbranch_execz .LBB2_835
; %bb.822:                              ;   in Loop: Header=BB2_799 Depth=2
	v_and_b32_e32 v40, 0x7fffffff, v118
	v_mov_b32_e32 v41, v65
	v_and_b32_e32 v44, 0x80, v119
                                        ; implicit-def: $vgpr117
	s_mov_b32 s7, exec_lo
	s_delay_alu instid0(VALU_DEP_2)
	v_cmpx_gt_u64_e32 0x43e00001, v[40:41]
	s_xor_b32 s18, exec_lo, s7
	s_cbranch_execz .LBB2_832
; %bb.823:                              ;   in Loop: Header=BB2_799 Depth=2
	v_mov_b32_e32 v117, 0
	s_mov_b32 s19, exec_lo
	v_cmpx_ne_u32_e32 0, v118
	s_cbranch_execz .LBB2_831
; %bb.824:                              ;   in Loop: Header=BB2_799 Depth=2
	v_bfe_u32 v117, v118, 23, 8
	v_and_b32_e32 v40, 0x7fffff, v118
	s_mov_b32 s20, exec_lo
	s_delay_alu instid0(VALU_DEP_2) | instskip(NEXT) | instid1(VALU_DEP_2)
	v_cmp_gt_u32_e32 vcc_lo, 0x7a, v117
	v_or_b32_e32 v41, 0x800000, v40
	v_sub_nc_u32_e32 v119, 0x79, v117
	s_delay_alu instid0(VALU_DEP_1) | instskip(SKIP_1) | instid1(VALU_DEP_4)
	v_cndmask_b32_e32 v119, 0, v119, vcc_lo
	v_cmp_eq_u32_e32 vcc_lo, 0, v117
	v_cndmask_b32_e32 v40, v41, v40, vcc_lo
	v_mov_b32_e32 v41, v65
	s_delay_alu instid0(VALU_DEP_4) | instskip(NEXT) | instid1(VALU_DEP_1)
	v_cndmask_b32_e64 v47, v119, 0x78, vcc_lo
	v_dual_add_nc_u32 v118, 20, v47 :: v_dual_add_nc_u32 v59, 19, v47
	s_delay_alu instid0(VALU_DEP_1) | instskip(NEXT) | instid1(VALU_DEP_2)
	v_lshlrev_b64_e64 v[118:119], v118, -1
	v_lshlrev_b64_e64 v[60:61], v59, 1
	s_delay_alu instid0(VALU_DEP_2) | instskip(NEXT) | instid1(VALU_DEP_3)
	v_bfi_b32 v63, v119, 0, 0
	v_bfi_b32 v62, v118, 0, v40
	v_lshrrev_b64 v[118:119], v47, v[40:41]
	s_delay_alu instid0(VALU_DEP_1) | instskip(NEXT) | instid1(VALU_DEP_3)
	v_mov_b64_e32 v[40:41], v[118:119]
	v_cmpx_eq_u64_e64 v[62:63], v[60:61]
; %bb.825:                              ;   in Loop: Header=BB2_799 Depth=2
	v_bfe_u32 v40, v118, 20, 1
	v_mov_b32_e32 v41, v65
	s_delay_alu instid0(VALU_DEP_1) | instskip(NEXT) | instid1(VALU_DEP_1)
	v_add_nc_u64_e32 v[40:41], v[118:119], v[40:41]
	v_add_nc_u64_e32 v[40:41], -1, v[40:41]
; %bb.826:                              ;   in Loop: Header=BB2_799 Depth=2
	s_or_b32 exec_lo, exec_lo, s20
	v_add_nc_u32_e32 v117, 0xffffff81, v117
	v_lshrrev_b32_e32 v119, 23, v118
	s_mov_b32 s7, exec_lo
	s_delay_alu instid0(VALU_DEP_2) | instskip(NEXT) | instid1(VALU_DEP_1)
	v_cndmask_b32_e64 v117, v117, 0xffffff82, vcc_lo
	v_add3_u32 v41, v47, v117, v119
	v_and_b32_e32 v117, 0xfffff, v40
	s_delay_alu instid0(VALU_DEP_2) | instskip(NEXT) | instid1(VALU_DEP_2)
	v_dual_mov_b32 v119, v65 :: v_dual_add_nc_u32 v40, 6, v41
	v_add_nc_u32_e32 v118, v117, v118
                                        ; implicit-def: $vgpr117
	s_delay_alu instid0(VALU_DEP_2)
	v_cmpx_ne_u32_e32 0, v40
	s_xor_b32 s7, exec_lo, s7
; %bb.827:                              ;   in Loop: Header=BB2_799 Depth=2
	s_delay_alu instid0(VALU_DEP_2) | instskip(SKIP_1) | instid1(VALU_DEP_1)
	v_cmp_lt_u64_e32 vcc_lo, 0xffffff, v[118:119]
	v_add_nc_u32_e32 v117, 7, v41
	v_cndmask_b32_e32 v117, v40, v117, vcc_lo
	v_cndmask_b32_e64 v40, 0, 1, vcc_lo
	s_delay_alu instid0(VALU_DEP_1)
	v_lshrrev_b64 v[118:119], v40, v[118:119]
; %bb.828:                              ;   in Loop: Header=BB2_799 Depth=2
	s_and_not1_saveexec_b32 s7, s7
; %bb.829:                              ;   in Loop: Header=BB2_799 Depth=2
	s_delay_alu instid0(VALU_DEP_1)
	v_bfe_u32 v117, v118, 23, 1
; %bb.830:                              ;   in Loop: Header=BB2_799 Depth=2
	s_or_b32 exec_lo, exec_lo, s7
	s_delay_alu instid0(VALU_DEP_2) | instskip(NEXT) | instid1(VALU_DEP_2)
	v_lshrrev_b64 v[118:119], 20, v[118:119]
	v_cmp_gt_i32_e32 vcc_lo, 16, v117
	v_min_i32_e32 v40, 15, v117
	v_cmp_eq_u32_e64 s7, 0, v117
	s_delay_alu instid0(VALU_DEP_2) | instskip(SKIP_1) | instid1(VALU_DEP_2)
	v_dual_cndmask_b32 v119, 0, v119 :: v_dual_lshlrev_b32 v40, 3, v40
	v_cndmask_b32_e32 v118, 7, v118, vcc_lo
	v_and_b32_e32 v40, 0xf8, v40
	s_delay_alu instid0(VALU_DEP_2) | instskip(NEXT) | instid1(VALU_DEP_2)
	v_cmp_eq_u64_e32 vcc_lo, 0, v[118:119]
	v_and_or_b32 v117, v118, 7, v40
	s_and_b32 s7, s7, vcc_lo
	s_delay_alu instid0(VALU_DEP_1) | instid1(SALU_CYCLE_1)
	v_cndmask_b32_e64 v117, v117, 0, s7
	s_delay_alu instid0(VALU_DEP_1)
	v_or_b32_e32 v117, v117, v44
.LBB2_831:                              ;   in Loop: Header=BB2_799 Depth=2
	s_or_b32 exec_lo, exec_lo, s19
                                        ; implicit-def: $vgpr44
.LBB2_832:                              ;   in Loop: Header=BB2_799 Depth=2
	s_and_not1_saveexec_b32 s7, s18
; %bb.833:                              ;   in Loop: Header=BB2_799 Depth=2
	v_or_b32_e32 v117, 0x7e, v44
; %bb.834:                              ;   in Loop: Header=BB2_799 Depth=2
	s_or_b32 exec_lo, exec_lo, s7
                                        ; implicit-def: $vgpr119
.LBB2_835:                              ;   in Loop: Header=BB2_799 Depth=2
	s_and_not1_saveexec_b32 s7, s17
; %bb.836:                              ;   in Loop: Header=BB2_799 Depth=2
	v_or_b32_e32 v117, 0x7f, v119
; %bb.837:                              ;   in Loop: Header=BB2_799 Depth=2
	s_or_b32 exec_lo, exec_lo, s7
	v_lshrrev_b16 v119, 8, v64
	v_mov_b32_e32 v118, 0
	s_mov_b32 s7, exec_lo
	s_delay_alu instid0(VALU_DEP_2)
	v_cmpx_ne_u16_e32 0, v119
	s_cbranch_execz .LBB2_845
; %bb.838:                              ;   in Loop: Header=BB2_799 Depth=2
	v_bfrev_b32_e32 v118, 1
	s_mov_b32 s17, exec_lo
	v_cmpx_ne_u16_e32 0x80, v119
	s_cbranch_execz .LBB2_844
; %bb.839:                              ;   in Loop: Header=BB2_799 Depth=2
	v_and_b32_e32 v119, 0xffff, v119
	v_mov_b32_e32 v118, 0x7f800001
	s_mov_b32 s18, exec_lo
	s_delay_alu instid0(VALU_DEP_2) | instskip(NEXT) | instid1(VALU_DEP_1)
	v_and_b32_e32 v41, 0x7f, v119
	v_cmpx_ne_u32_e32 0x7f, v41
	s_cbranch_execz .LBB2_843
; %bb.840:                              ;   in Loop: Header=BB2_799 Depth=2
	v_dual_mov_b32 v119, v65 :: v_dual_bitop2_b32 v118, 7, v119 bitop3:0x40
	v_lshrrev_b32_e32 v40, 3, v41
	s_mov_b32 s19, exec_lo
	v_cmpx_gt_u32_e32 8, v41
; %bb.841:                              ;   in Loop: Header=BB2_799 Depth=2
	s_delay_alu instid0(VALU_DEP_3) | instskip(NEXT) | instid1(VALU_DEP_1)
	v_clz_i32_u32_e32 v40, v118
	v_min_u32_e32 v40, 32, v40
	s_delay_alu instid0(VALU_DEP_1) | instskip(NEXT) | instid1(VALU_DEP_1)
	v_subrev_nc_u32_e32 v41, 28, v40
	v_lshlrev_b64_e32 v[118:119], v41, v[118:119]
	s_delay_alu instid0(VALU_DEP_1)
	v_dual_sub_nc_u32 v40, 29, v40 :: v_dual_bitop2_b32 v118, 7, v118 bitop3:0x40
; %bb.842:                              ;   in Loop: Header=BB2_799 Depth=2
	s_or_b32 exec_lo, exec_lo, s19
	s_delay_alu instid0(VALU_DEP_1) | instskip(NEXT) | instid1(VALU_DEP_2)
	v_dual_lshlrev_b32 v119, 16, v64 :: v_dual_lshlrev_b32 v118, 20, v118
	v_lshl_add_u32 v40, v40, 23, 0x3c000000
	s_delay_alu instid0(VALU_DEP_2) | instskip(NEXT) | instid1(VALU_DEP_1)
	v_and_b32_e32 v119, 0x80000000, v119
	v_or3_b32 v118, v118, v119, v40
.LBB2_843:                              ;   in Loop: Header=BB2_799 Depth=2
	s_or_b32 exec_lo, exec_lo, s18
.LBB2_844:                              ;   in Loop: Header=BB2_799 Depth=2
	s_delay_alu instid0(SALU_CYCLE_1)
	s_or_b32 exec_lo, exec_lo, s17
.LBB2_845:                              ;   in Loop: Header=BB2_799 Depth=2
	s_delay_alu instid0(SALU_CYCLE_1) | instskip(NEXT) | instid1(VALU_DEP_1)
	s_or_b32 exec_lo, exec_lo, s7
	v_dual_mul_f32 v118, v30, v118 :: v_dual_mov_b32 v41, v65
                                        ; implicit-def: $vgpr44
	s_mov_b32 s7, exec_lo
	s_delay_alu instid0(VALU_DEP_1) | instskip(SKIP_1) | instid1(VALU_DEP_2)
	v_and_b32_e32 v40, 0x7f800000, v118
	v_lshrrev_b32_e32 v119, 24, v118
	v_cmpx_ne_u64_e32 0x7f800000, v[40:41]
	s_xor_b32 s17, exec_lo, s7
	s_cbranch_execz .LBB2_859
; %bb.846:                              ;   in Loop: Header=BB2_799 Depth=2
	v_and_b32_e32 v40, 0x7fffffff, v118
	v_mov_b32_e32 v41, v65
	v_and_b32_e32 v47, 0x80, v119
                                        ; implicit-def: $vgpr44
	s_mov_b32 s7, exec_lo
	s_delay_alu instid0(VALU_DEP_2)
	v_cmpx_gt_u64_e32 0x43e00001, v[40:41]
	s_xor_b32 s18, exec_lo, s7
	s_cbranch_execz .LBB2_856
; %bb.847:                              ;   in Loop: Header=BB2_799 Depth=2
	v_mov_b32_e32 v44, 0
	s_mov_b32 s19, exec_lo
	v_cmpx_ne_u32_e32 0, v118
	s_cbranch_execz .LBB2_855
; %bb.848:                              ;   in Loop: Header=BB2_799 Depth=2
	v_bfe_u32 v44, v118, 23, 8
	v_and_b32_e32 v40, 0x7fffff, v118
	s_mov_b32 s20, exec_lo
	s_delay_alu instid0(VALU_DEP_2) | instskip(SKIP_1) | instid1(VALU_DEP_3)
	v_sub_nc_u32_e32 v119, 0x79, v44
	v_cmp_gt_u32_e32 vcc_lo, 0x7a, v44
	v_or_b32_e32 v41, 0x800000, v40
	s_delay_alu instid0(VALU_DEP_3) | instskip(SKIP_1) | instid1(VALU_DEP_3)
	v_cndmask_b32_e32 v119, 0, v119, vcc_lo
	v_cmp_eq_u32_e32 vcc_lo, 0, v44
	v_cndmask_b32_e32 v40, v41, v40, vcc_lo
	s_delay_alu instid0(VALU_DEP_3) | instskip(NEXT) | instid1(VALU_DEP_1)
	v_cndmask_b32_e64 v59, v119, 0x78, vcc_lo
	v_dual_mov_b32 v41, v65 :: v_dual_add_nc_u32 v118, 20, v59
	v_add_nc_u32_e32 v60, 19, v59
	s_delay_alu instid0(VALU_DEP_2) | instskip(NEXT) | instid1(VALU_DEP_2)
	v_lshlrev_b64_e64 v[118:119], v118, -1
	v_lshlrev_b64_e64 v[60:61], v60, 1
	s_delay_alu instid0(VALU_DEP_2) | instskip(NEXT) | instid1(VALU_DEP_3)
	v_bfi_b32 v63, v119, 0, 0
	v_bfi_b32 v62, v118, 0, v40
	v_lshrrev_b64 v[118:119], v59, v[40:41]
	s_delay_alu instid0(VALU_DEP_1) | instskip(NEXT) | instid1(VALU_DEP_3)
	v_mov_b64_e32 v[40:41], v[118:119]
	v_cmpx_eq_u64_e64 v[62:63], v[60:61]
; %bb.849:                              ;   in Loop: Header=BB2_799 Depth=2
	v_bfe_u32 v40, v118, 20, 1
	v_mov_b32_e32 v41, v65
	s_delay_alu instid0(VALU_DEP_1) | instskip(NEXT) | instid1(VALU_DEP_1)
	v_add_nc_u64_e32 v[40:41], v[118:119], v[40:41]
	v_add_nc_u64_e32 v[40:41], -1, v[40:41]
; %bb.850:                              ;   in Loop: Header=BB2_799 Depth=2
	s_or_b32 exec_lo, exec_lo, s20
	v_add_nc_u32_e32 v119, 0xffffff81, v44
	v_lshrrev_b32_e32 v41, 23, v118
	s_mov_b32 s7, exec_lo
	s_delay_alu instid0(VALU_DEP_2) | instskip(NEXT) | instid1(VALU_DEP_1)
	v_cndmask_b32_e64 v119, v119, 0xffffff82, vcc_lo
	v_add3_u32 v41, v59, v119, v41
	v_and_b32_e32 v119, 0xfffff, v40
                                        ; implicit-def: $vgpr40
	s_delay_alu instid0(VALU_DEP_1) | instskip(SKIP_1) | instid1(VALU_DEP_2)
	v_dual_add_nc_u32 v44, 6, v41 :: v_dual_add_nc_u32 v118, v119, v118
	v_mov_b32_e32 v119, v65
	v_cmpx_ne_u32_e32 0, v44
	s_xor_b32 s7, exec_lo, s7
; %bb.851:                              ;   in Loop: Header=BB2_799 Depth=2
	s_delay_alu instid0(VALU_DEP_2) | instskip(SKIP_2) | instid1(VALU_DEP_2)
	v_cmp_lt_u64_e32 vcc_lo, 0xffffff, v[118:119]
	v_add_nc_u32_e32 v40, 7, v41
	v_cndmask_b32_e64 v41, 0, 1, vcc_lo
	v_cndmask_b32_e32 v40, v44, v40, vcc_lo
	s_delay_alu instid0(VALU_DEP_2)
	v_lshrrev_b64 v[118:119], v41, v[118:119]
; %bb.852:                              ;   in Loop: Header=BB2_799 Depth=2
	s_and_not1_saveexec_b32 s7, s7
; %bb.853:                              ;   in Loop: Header=BB2_799 Depth=2
	s_delay_alu instid0(VALU_DEP_1)
	v_bfe_u32 v40, v118, 23, 1
; %bb.854:                              ;   in Loop: Header=BB2_799 Depth=2
	s_or_b32 exec_lo, exec_lo, s7
	s_delay_alu instid0(VALU_DEP_2) | instskip(NEXT) | instid1(VALU_DEP_2)
	v_lshrrev_b64 v[118:119], 20, v[118:119]
	v_cmp_gt_i32_e32 vcc_lo, 16, v40
	v_min_i32_e32 v41, 15, v40
	v_cmp_eq_u32_e64 s7, 0, v40
	s_delay_alu instid0(VALU_DEP_2) | instskip(SKIP_1) | instid1(VALU_DEP_2)
	v_dual_cndmask_b32 v119, 0, v119, vcc_lo :: v_dual_lshlrev_b32 v41, 3, v41
	v_cndmask_b32_e32 v118, 7, v118, vcc_lo
	v_and_b32_e32 v41, 0xf8, v41
	s_delay_alu instid0(VALU_DEP_2) | instskip(NEXT) | instid1(VALU_DEP_2)
	v_cmp_eq_u64_e32 vcc_lo, 0, v[118:119]
	v_and_or_b32 v118, v118, 7, v41
	s_and_b32 s7, s7, vcc_lo
	s_delay_alu instid0(VALU_DEP_1) | instid1(SALU_CYCLE_1)
	v_cndmask_b32_e64 v118, v118, 0, s7
	s_delay_alu instid0(VALU_DEP_1)
	v_or_b32_e32 v44, v118, v47
.LBB2_855:                              ;   in Loop: Header=BB2_799 Depth=2
	s_or_b32 exec_lo, exec_lo, s19
                                        ; implicit-def: $vgpr47
.LBB2_856:                              ;   in Loop: Header=BB2_799 Depth=2
	s_and_not1_saveexec_b32 s7, s18
; %bb.857:                              ;   in Loop: Header=BB2_799 Depth=2
	v_or_b32_e32 v44, 0x7e, v47
; %bb.858:                              ;   in Loop: Header=BB2_799 Depth=2
	s_or_b32 exec_lo, exec_lo, s7
                                        ; implicit-def: $vgpr119
.LBB2_859:                              ;   in Loop: Header=BB2_799 Depth=2
	s_and_not1_saveexec_b32 s7, s17
; %bb.860:                              ;   in Loop: Header=BB2_799 Depth=2
	v_or_b32_e32 v44, 0x7f, v119
; %bb.861:                              ;   in Loop: Header=BB2_799 Depth=2
	s_or_b32 exec_lo, exec_lo, s7
	v_dual_lshrrev_b32 v40, 16, v64 :: v_dual_mov_b32 v118, 0
	s_mov_b32 s7, exec_lo
	s_delay_alu instid0(VALU_DEP_1) | instskip(NEXT) | instid1(VALU_DEP_1)
	v_and_b32_e32 v119, 0xff, v40
	v_cmpx_ne_u16_e32 0, v119
	s_cbranch_execz .LBB2_869
; %bb.862:                              ;   in Loop: Header=BB2_799 Depth=2
	v_bfrev_b32_e32 v118, 1
	s_mov_b32 s17, exec_lo
	v_cmpx_ne_u16_e32 0x80, v119
	s_cbranch_execz .LBB2_868
; %bb.863:                              ;   in Loop: Header=BB2_799 Depth=2
	v_bfe_u32 v47, v64, 16, 7
	v_mov_b32_e32 v118, 0x7f800001
	s_mov_b32 s18, exec_lo
	s_delay_alu instid0(VALU_DEP_2)
	v_cmpx_ne_u32_e32 0x7f, v47
	s_cbranch_execz .LBB2_867
; %bb.864:                              ;   in Loop: Header=BB2_799 Depth=2
	v_dual_mov_b32 v119, v65 :: v_dual_bitop2_b32 v118, 7, v40 bitop3:0x40
	v_lshrrev_b32_e32 v41, 3, v47
	s_mov_b32 s19, exec_lo
	v_cmpx_gt_u32_e32 8, v47
; %bb.865:                              ;   in Loop: Header=BB2_799 Depth=2
	s_delay_alu instid0(VALU_DEP_3) | instskip(NEXT) | instid1(VALU_DEP_1)
	v_clz_i32_u32_e32 v41, v118
	v_min_u32_e32 v41, 32, v41
	s_delay_alu instid0(VALU_DEP_1) | instskip(NEXT) | instid1(VALU_DEP_1)
	v_subrev_nc_u32_e32 v47, 28, v41
	v_lshlrev_b64_e32 v[118:119], v47, v[118:119]
	s_delay_alu instid0(VALU_DEP_1)
	v_dual_sub_nc_u32 v41, 29, v41 :: v_dual_bitop2_b32 v118, 7, v118 bitop3:0x40
; %bb.866:                              ;   in Loop: Header=BB2_799 Depth=2
	s_or_b32 exec_lo, exec_lo, s19
	s_delay_alu instid0(VALU_DEP_1) | instskip(NEXT) | instid1(VALU_DEP_2)
	v_dual_lshlrev_b32 v119, 24, v40 :: v_dual_lshlrev_b32 v118, 20, v118
	v_lshl_add_u32 v40, v41, 23, 0x3c000000
	s_delay_alu instid0(VALU_DEP_2) | instskip(NEXT) | instid1(VALU_DEP_1)
	v_and_b32_e32 v119, 0x80000000, v119
	v_or3_b32 v118, v118, v119, v40
.LBB2_867:                              ;   in Loop: Header=BB2_799 Depth=2
	s_or_b32 exec_lo, exec_lo, s18
.LBB2_868:                              ;   in Loop: Header=BB2_799 Depth=2
	s_delay_alu instid0(SALU_CYCLE_1)
	s_or_b32 exec_lo, exec_lo, s17
.LBB2_869:                              ;   in Loop: Header=BB2_799 Depth=2
	s_delay_alu instid0(SALU_CYCLE_1) | instskip(NEXT) | instid1(VALU_DEP_1)
	s_or_b32 exec_lo, exec_lo, s7
	v_dual_mul_f32 v118, v30, v118 :: v_dual_mov_b32 v41, v65
                                        ; implicit-def: $vgpr59
	s_mov_b32 s7, exec_lo
	s_delay_alu instid0(VALU_DEP_1) | instskip(SKIP_1) | instid1(VALU_DEP_2)
	v_and_b32_e32 v40, 0x7f800000, v118
	v_lshrrev_b32_e32 v119, 24, v118
	v_cmpx_ne_u64_e32 0x7f800000, v[40:41]
	s_xor_b32 s17, exec_lo, s7
	s_cbranch_execz .LBB2_883
; %bb.870:                              ;   in Loop: Header=BB2_799 Depth=2
	v_and_b32_e32 v40, 0x7fffffff, v118
	v_mov_b32_e32 v41, v65
	v_and_b32_e32 v47, 0x80, v119
                                        ; implicit-def: $vgpr59
	s_mov_b32 s7, exec_lo
	s_delay_alu instid0(VALU_DEP_2)
	v_cmpx_gt_u64_e32 0x43e00001, v[40:41]
	s_xor_b32 s18, exec_lo, s7
	s_cbranch_execz .LBB2_880
; %bb.871:                              ;   in Loop: Header=BB2_799 Depth=2
	v_mov_b32_e32 v59, 0
	s_mov_b32 s19, exec_lo
	v_cmpx_ne_u32_e32 0, v118
	s_cbranch_execz .LBB2_879
; %bb.872:                              ;   in Loop: Header=BB2_799 Depth=2
	v_bfe_u32 v59, v118, 23, 8
	v_and_b32_e32 v119, 0x7fffff, v118
	s_delay_alu instid0(VALU_DEP_2) | instskip(SKIP_2) | instid1(VALU_DEP_4)
	v_cmp_gt_u32_e64 s7, 0x7a, v59
	v_sub_nc_u32_e32 v118, 0x79, v59
	v_cmp_eq_u32_e32 vcc_lo, 0, v59
	v_or_b32_e32 v40, 0x800000, v119
	s_delay_alu instid0(VALU_DEP_3) | instskip(NEXT) | instid1(VALU_DEP_1)
	v_cndmask_b32_e64 v118, 0, v118, s7
	v_cndmask_b32_e64 v60, v118, 0x78, vcc_lo
	s_delay_alu instid0(VALU_DEP_3) | instskip(NEXT) | instid1(VALU_DEP_2)
	v_dual_cndmask_b32 v118, v40, v119 :: v_dual_mov_b32 v119, v65
	v_dual_add_nc_u32 v40, 20, v60 :: v_dual_add_nc_u32 v61, 19, v60
	s_delay_alu instid0(VALU_DEP_1) | instskip(NEXT) | instid1(VALU_DEP_2)
	v_lshlrev_b64_e64 v[40:41], v40, -1
	v_lshlrev_b64_e64 v[62:63], v61, 1
	s_delay_alu instid0(VALU_DEP_2) | instskip(SKIP_1) | instid1(VALU_DEP_4)
	v_bfi_b32 v40, v40, 0, v118
	v_lshrrev_b64 v[118:119], v60, v[118:119]
	v_bfi_b32 v41, v41, 0, 0
	s_delay_alu instid0(VALU_DEP_1) | instskip(NEXT) | instid1(VALU_DEP_3)
	v_cmp_eq_u64_e64 s7, v[40:41], v[62:63]
	v_mov_b64_e32 v[40:41], v[118:119]
	s_and_saveexec_b32 s20, s7
; %bb.873:                              ;   in Loop: Header=BB2_799 Depth=2
	v_bfe_u32 v40, v118, 20, 1
	v_mov_b32_e32 v41, v65
	s_delay_alu instid0(VALU_DEP_1) | instskip(NEXT) | instid1(VALU_DEP_1)
	v_add_nc_u64_e32 v[40:41], v[118:119], v[40:41]
	v_add_nc_u64_e32 v[40:41], -1, v[40:41]
; %bb.874:                              ;   in Loop: Header=BB2_799 Depth=2
	s_or_b32 exec_lo, exec_lo, s20
	v_add_nc_u32_e32 v119, 0xffffff81, v59
	v_lshrrev_b32_e32 v41, 23, v118
	s_mov_b32 s7, exec_lo
	s_delay_alu instid0(VALU_DEP_2) | instskip(NEXT) | instid1(VALU_DEP_1)
	v_cndmask_b32_e64 v119, v119, 0xffffff82, vcc_lo
	v_add3_u32 v41, v60, v119, v41
	v_and_b32_e32 v119, 0xfffff, v40
                                        ; implicit-def: $vgpr40
	s_delay_alu instid0(VALU_DEP_1) | instskip(SKIP_1) | instid1(VALU_DEP_2)
	v_dual_add_nc_u32 v59, 6, v41 :: v_dual_add_nc_u32 v118, v119, v118
	v_mov_b32_e32 v119, v65
	v_cmpx_ne_u32_e32 0, v59
	s_xor_b32 s7, exec_lo, s7
; %bb.875:                              ;   in Loop: Header=BB2_799 Depth=2
	s_delay_alu instid0(VALU_DEP_2) | instskip(SKIP_2) | instid1(VALU_DEP_2)
	v_cmp_lt_u64_e32 vcc_lo, 0xffffff, v[118:119]
	v_add_nc_u32_e32 v40, 7, v41
	v_cndmask_b32_e64 v41, 0, 1, vcc_lo
	v_cndmask_b32_e32 v40, v59, v40, vcc_lo
	s_delay_alu instid0(VALU_DEP_2)
	v_lshrrev_b64 v[118:119], v41, v[118:119]
; %bb.876:                              ;   in Loop: Header=BB2_799 Depth=2
	s_and_not1_saveexec_b32 s7, s7
; %bb.877:                              ;   in Loop: Header=BB2_799 Depth=2
	s_delay_alu instid0(VALU_DEP_1)
	v_bfe_u32 v40, v118, 23, 1
; %bb.878:                              ;   in Loop: Header=BB2_799 Depth=2
	s_or_b32 exec_lo, exec_lo, s7
	s_delay_alu instid0(VALU_DEP_2) | instskip(NEXT) | instid1(VALU_DEP_2)
	v_lshrrev_b64 v[118:119], 20, v[118:119]
	v_cmp_gt_i32_e32 vcc_lo, 16, v40
	v_min_i32_e32 v41, 15, v40
	v_cmp_eq_u32_e64 s7, 0, v40
	s_delay_alu instid0(VALU_DEP_2) | instskip(SKIP_1) | instid1(VALU_DEP_2)
	v_dual_cndmask_b32 v119, 0, v119, vcc_lo :: v_dual_lshlrev_b32 v41, 3, v41
	v_cndmask_b32_e32 v118, 7, v118, vcc_lo
	v_and_b32_e32 v41, 0xf8, v41
	s_delay_alu instid0(VALU_DEP_2) | instskip(NEXT) | instid1(VALU_DEP_2)
	v_cmp_eq_u64_e32 vcc_lo, 0, v[118:119]
	v_and_or_b32 v118, v118, 7, v41
	s_and_b32 s7, s7, vcc_lo
	s_delay_alu instid0(VALU_DEP_1) | instid1(SALU_CYCLE_1)
	v_cndmask_b32_e64 v118, v118, 0, s7
	s_delay_alu instid0(VALU_DEP_1)
	v_or_b32_e32 v59, v118, v47
.LBB2_879:                              ;   in Loop: Header=BB2_799 Depth=2
	s_or_b32 exec_lo, exec_lo, s19
                                        ; implicit-def: $vgpr47
.LBB2_880:                              ;   in Loop: Header=BB2_799 Depth=2
	s_and_not1_saveexec_b32 s7, s18
; %bb.881:                              ;   in Loop: Header=BB2_799 Depth=2
	v_or_b32_e32 v59, 0x7e, v47
; %bb.882:                              ;   in Loop: Header=BB2_799 Depth=2
	s_or_b32 exec_lo, exec_lo, s7
                                        ; implicit-def: $vgpr119
.LBB2_883:                              ;   in Loop: Header=BB2_799 Depth=2
	s_and_not1_saveexec_b32 s7, s17
; %bb.884:                              ;   in Loop: Header=BB2_799 Depth=2
	v_or_b32_e32 v59, 0x7f, v119
; %bb.885:                              ;   in Loop: Header=BB2_799 Depth=2
	s_or_b32 exec_lo, exec_lo, s7
	v_mov_b32_e32 v119, 0
	s_mov_b32 s7, exec_lo
	v_cmpx_lt_u32_e32 0xffffff, v64
	s_cbranch_execz .LBB2_893
; %bb.886:                              ;   in Loop: Header=BB2_799 Depth=2
	v_lshrrev_b32_e32 v118, 24, v64
	v_bfrev_b32_e32 v119, 1
	s_mov_b32 s17, exec_lo
	s_delay_alu instid0(VALU_DEP_2)
	v_cmpx_ne_u32_e32 0x80, v118
	s_cbranch_execz .LBB2_892
; %bb.887:                              ;   in Loop: Header=BB2_799 Depth=2
	v_bfe_u32 v40, v64, 24, 7
	v_mov_b32_e32 v119, 0x7f800001
	s_mov_b32 s18, exec_lo
	s_delay_alu instid0(VALU_DEP_2)
	v_cmpx_ne_u32_e32 0x7f, v40
	s_cbranch_execz .LBB2_891
; %bb.888:                              ;   in Loop: Header=BB2_799 Depth=2
	v_dual_lshrrev_b32 v119, 3, v40 :: v_dual_bitop2_b32 v64, 7, v118 bitop3:0x40
	s_mov_b32 s19, exec_lo
	v_cmpx_gt_u32_e32 8, v40
; %bb.889:                              ;   in Loop: Header=BB2_799 Depth=2
	s_delay_alu instid0(VALU_DEP_2) | instskip(NEXT) | instid1(VALU_DEP_1)
	v_clz_i32_u32_e32 v119, v64
	v_min_u32_e32 v119, 32, v119
	s_delay_alu instid0(VALU_DEP_1) | instskip(NEXT) | instid1(VALU_DEP_1)
	v_subrev_nc_u32_e32 v40, 28, v119
	v_lshlrev_b64_e32 v[40:41], v40, v[64:65]
	s_delay_alu instid0(VALU_DEP_1)
	v_dual_sub_nc_u32 v119, 29, v119 :: v_dual_bitop2_b32 v64, 7, v40 bitop3:0x40
; %bb.890:                              ;   in Loop: Header=BB2_799 Depth=2
	s_or_b32 exec_lo, exec_lo, s19
	s_delay_alu instid0(VALU_DEP_1) | instskip(NEXT) | instid1(VALU_DEP_2)
	v_dual_lshlrev_b32 v118, 24, v118 :: v_dual_lshlrev_b32 v64, 20, v64
	v_lshl_add_u32 v119, v119, 23, 0x3c000000
	s_delay_alu instid0(VALU_DEP_2) | instskip(NEXT) | instid1(VALU_DEP_1)
	v_and_b32_e32 v118, 0x80000000, v118
	v_or3_b32 v119, v64, v118, v119
.LBB2_891:                              ;   in Loop: Header=BB2_799 Depth=2
	s_or_b32 exec_lo, exec_lo, s18
.LBB2_892:                              ;   in Loop: Header=BB2_799 Depth=2
	s_delay_alu instid0(SALU_CYCLE_1)
	s_or_b32 exec_lo, exec_lo, s17
.LBB2_893:                              ;   in Loop: Header=BB2_799 Depth=2
	s_delay_alu instid0(SALU_CYCLE_1) | instskip(NEXT) | instid1(VALU_DEP_1)
	s_or_b32 exec_lo, exec_lo, s7
	v_mul_f32_e32 v118, v30, v119
                                        ; implicit-def: $vgpr60
	s_mov_b32 s7, exec_lo
	s_delay_alu instid0(VALU_DEP_1) | instskip(SKIP_1) | instid1(VALU_DEP_2)
	v_and_b32_e32 v64, 0x7f800000, v118
	v_lshrrev_b32_e32 v119, 24, v118
	v_cmpx_ne_u64_e32 0x7f800000, v[64:65]
	s_xor_b32 s17, exec_lo, s7
	s_cbranch_execz .LBB2_907
; %bb.894:                              ;   in Loop: Header=BB2_799 Depth=2
	v_and_b32_e32 v64, 0x7fffffff, v118
	v_and_b32_e32 v47, 0x80, v119
                                        ; implicit-def: $vgpr60
	s_mov_b32 s7, exec_lo
	s_delay_alu instid0(VALU_DEP_2)
	v_cmpx_gt_u64_e32 0x43e00001, v[64:65]
	s_xor_b32 s18, exec_lo, s7
	s_cbranch_execz .LBB2_904
; %bb.895:                              ;   in Loop: Header=BB2_799 Depth=2
	v_mov_b32_e32 v60, 0
	s_mov_b32 s19, exec_lo
	v_cmpx_ne_u32_e32 0, v118
	s_cbranch_execz .LBB2_903
; %bb.896:                              ;   in Loop: Header=BB2_799 Depth=2
	v_bfe_u32 v60, v118, 23, 8
	s_delay_alu instid0(VALU_DEP_1) | instskip(SKIP_1) | instid1(VALU_DEP_2)
	v_sub_nc_u32_e32 v64, 0x79, v60
	v_cmp_gt_u32_e32 vcc_lo, 0x7a, v60
	v_cndmask_b32_e32 v64, 0, v64, vcc_lo
	v_cmp_eq_u32_e32 vcc_lo, 0, v60
	s_delay_alu instid0(VALU_DEP_2) | instskip(SKIP_1) | instid1(VALU_DEP_2)
	v_cndmask_b32_e64 v61, v64, 0x78, vcc_lo
	v_and_b32_e32 v64, 0x7fffff, v118
	v_add_nc_u32_e32 v118, 20, v61
	s_delay_alu instid0(VALU_DEP_2) | instskip(SKIP_1) | instid1(VALU_DEP_3)
	v_or_b32_e32 v40, 0x800000, v64
	v_add_nc_u32_e32 v41, 19, v61
	v_lshlrev_b64_e64 v[118:119], v118, -1
	s_delay_alu instid0(VALU_DEP_3) | instskip(NEXT) | instid1(VALU_DEP_3)
	v_cndmask_b32_e32 v64, v40, v64, vcc_lo
	v_lshlrev_b64_e64 v[40:41], v41, 1
	s_delay_alu instid0(VALU_DEP_3) | instskip(NEXT) | instid1(VALU_DEP_3)
	v_bfi_b32 v63, v119, 0, 0
	v_bfi_b32 v62, v118, 0, v64
	v_lshrrev_b64 v[118:119], v61, v[64:65]
	s_delay_alu instid0(VALU_DEP_2) | instskip(NEXT) | instid1(VALU_DEP_2)
	v_cmp_eq_u64_e64 s7, v[62:63], v[40:41]
	v_mov_b64_e32 v[40:41], v[118:119]
	s_and_saveexec_b32 s20, s7
; %bb.897:                              ;   in Loop: Header=BB2_799 Depth=2
	v_bfe_u32 v64, v118, 20, 1
	s_delay_alu instid0(VALU_DEP_1) | instskip(NEXT) | instid1(VALU_DEP_1)
	v_add_nc_u64_e32 v[40:41], v[118:119], v[64:65]
	v_add_nc_u64_e32 v[40:41], -1, v[40:41]
; %bb.898:                              ;   in Loop: Header=BB2_799 Depth=2
	s_or_b32 exec_lo, exec_lo, s20
	v_add_nc_u32_e32 v64, 0xffffff81, v60
	v_lshrrev_b32_e32 v119, 23, v118
	s_mov_b32 s7, exec_lo
	s_delay_alu instid0(VALU_DEP_2) | instskip(NEXT) | instid1(VALU_DEP_1)
	v_cndmask_b32_e64 v64, v64, 0xffffff82, vcc_lo
	v_add3_u32 v41, v61, v64, v119
	v_and_b32_e32 v64, 0xfffff, v40
                                        ; implicit-def: $vgpr40
	s_delay_alu instid0(VALU_DEP_1) | instskip(NEXT) | instid1(VALU_DEP_1)
	v_dual_add_nc_u32 v60, 6, v41 :: v_dual_add_nc_u32 v64, v64, v118
                                        ; implicit-def: $vgpr118_vgpr119
	v_cmpx_ne_u32_e32 0, v60
	s_xor_b32 s7, exec_lo, s7
; %bb.899:                              ;   in Loop: Header=BB2_799 Depth=2
	s_delay_alu instid0(VALU_DEP_2) | instskip(SKIP_1) | instid1(VALU_DEP_1)
	v_cmp_lt_u64_e32 vcc_lo, 0xffffff, v[64:65]
	v_add_nc_u32_e32 v118, 7, v41
	v_cndmask_b32_e32 v40, v60, v118, vcc_lo
	v_cndmask_b32_e64 v118, 0, 1, vcc_lo
	s_delay_alu instid0(VALU_DEP_1)
	v_lshrrev_b64 v[118:119], v118, v[64:65]
; %bb.900:                              ;   in Loop: Header=BB2_799 Depth=2
	s_and_not1_saveexec_b32 s7, s7
; %bb.901:                              ;   in Loop: Header=BB2_799 Depth=2
	v_mov_b64_e32 v[118:119], v[64:65]
	v_bfe_u32 v40, v64, 23, 1
; %bb.902:                              ;   in Loop: Header=BB2_799 Depth=2
	s_or_b32 exec_lo, exec_lo, s7
	s_delay_alu instid0(VALU_DEP_2) | instskip(NEXT) | instid1(VALU_DEP_2)
	v_lshrrev_b64 v[118:119], 20, v[118:119]
	v_cmp_gt_i32_e32 vcc_lo, 16, v40
	v_min_i32_e32 v64, 15, v40
	v_cmp_eq_u32_e64 s7, 0, v40
	s_delay_alu instid0(VALU_DEP_2) | instskip(SKIP_1) | instid1(VALU_DEP_2)
	v_dual_cndmask_b32 v119, 0, v119 :: v_dual_lshlrev_b32 v64, 3, v64
	v_cndmask_b32_e32 v118, 7, v118, vcc_lo
	v_and_b32_e32 v64, 0xf8, v64
	s_delay_alu instid0(VALU_DEP_2) | instskip(NEXT) | instid1(VALU_DEP_2)
	v_cmp_eq_u64_e32 vcc_lo, 0, v[118:119]
	v_and_or_b32 v64, v118, 7, v64
	s_and_b32 s7, s7, vcc_lo
	s_delay_alu instid0(VALU_DEP_1) | instid1(SALU_CYCLE_1)
	v_cndmask_b32_e64 v64, v64, 0, s7
	s_delay_alu instid0(VALU_DEP_1)
	v_or_b32_e32 v60, v64, v47
.LBB2_903:                              ;   in Loop: Header=BB2_799 Depth=2
	s_or_b32 exec_lo, exec_lo, s19
                                        ; implicit-def: $vgpr47
.LBB2_904:                              ;   in Loop: Header=BB2_799 Depth=2
	s_and_not1_saveexec_b32 s7, s18
; %bb.905:                              ;   in Loop: Header=BB2_799 Depth=2
	v_or_b32_e32 v60, 0x7e, v47
; %bb.906:                              ;   in Loop: Header=BB2_799 Depth=2
	s_or_b32 exec_lo, exec_lo, s7
                                        ; implicit-def: $vgpr119
.LBB2_907:                              ;   in Loop: Header=BB2_799 Depth=2
	s_and_not1_saveexec_b32 s7, s17
; %bb.908:                              ;   in Loop: Header=BB2_799 Depth=2
	v_or_b32_e32 v60, 0x7f, v119
; %bb.909:                              ;   in Loop: Header=BB2_799 Depth=2
	s_or_b32 exec_lo, exec_lo, s7
	v_alignbit_b32 v64, v43, v45, v46
	v_mov_b32_e32 v118, 0
	s_mov_b32 s7, exec_lo
	s_delay_alu instid0(VALU_DEP_2) | instskip(NEXT) | instid1(VALU_DEP_1)
	v_and_b32_e32 v119, 0xff, v64
	v_cmpx_ne_u16_e32 0, v119
	s_cbranch_execz .LBB2_915
; %bb.910:                              ;   in Loop: Header=BB2_799 Depth=2
	v_bfrev_b32_e32 v118, 1
	s_mov_b32 s17, exec_lo
	v_cmpx_ne_u16_e32 0x80, v119
	s_cbranch_execz .LBB2_914
; %bb.911:                              ;   in Loop: Header=BB2_799 Depth=2
	v_and_b32_e32 v119, 0x7f, v64
	v_mov_b32_e32 v118, 0x7f800001
	s_mov_b32 s18, exec_lo
	s_delay_alu instid0(VALU_DEP_2)
	v_cmpx_ne_u32_e32 0x7f, v119
	s_cbranch_execz .LBB2_913
; %bb.912:                              ;   in Loop: Header=BB2_799 Depth=2
	v_dual_lshrrev_b32 v40, 3, v119 :: v_dual_bitop2_b32 v118, 7, v64 bitop3:0x40
	v_cmp_gt_u32_e32 vcc_lo, 8, v119
	s_delay_alu instid0(VALU_DEP_2) | instskip(NEXT) | instid1(VALU_DEP_1)
	v_clz_i32_u32_e32 v118, v118
	v_min_u32_e32 v118, 32, v118
	s_delay_alu instid0(VALU_DEP_1) | instskip(SKIP_1) | instid1(VALU_DEP_1)
	v_subrev_nc_u32_e32 v41, 28, v118
	v_sub_nc_u32_e32 v118, 29, v118
	v_dual_cndmask_b32 v40, v40, v118, vcc_lo :: v_dual_cndmask_b32 v118, 0, v41, vcc_lo
	s_delay_alu instid0(VALU_DEP_1) | instskip(NEXT) | instid1(VALU_DEP_2)
	v_lshl_add_u32 v40, v40, 23, 0x3c000000
	v_lshlrev_b64_e32 v[118:119], v118, v[64:65]
	v_lshlrev_b32_e32 v119, 24, v64
	s_delay_alu instid0(VALU_DEP_1) | instskip(NEXT) | instid1(VALU_DEP_3)
	v_and_b32_e32 v119, 0x80000000, v119
	v_lshlrev_b32_e32 v118, 20, v118
	s_delay_alu instid0(VALU_DEP_1) | instskip(NEXT) | instid1(VALU_DEP_1)
	v_and_b32_e32 v118, 0x700000, v118
	v_or3_b32 v118, v118, v119, v40
.LBB2_913:                              ;   in Loop: Header=BB2_799 Depth=2
	s_or_b32 exec_lo, exec_lo, s18
.LBB2_914:                              ;   in Loop: Header=BB2_799 Depth=2
	s_delay_alu instid0(SALU_CYCLE_1)
	s_or_b32 exec_lo, exec_lo, s17
.LBB2_915:                              ;   in Loop: Header=BB2_799 Depth=2
	s_delay_alu instid0(SALU_CYCLE_1) | instskip(NEXT) | instid1(VALU_DEP_1)
	s_or_b32 exec_lo, exec_lo, s7
	v_dual_mul_f32 v118, v30, v118 :: v_dual_mov_b32 v41, v65
                                        ; implicit-def: $vgpr43
	s_mov_b32 s7, exec_lo
	s_delay_alu instid0(VALU_DEP_1) | instskip(SKIP_1) | instid1(VALU_DEP_2)
	v_and_b32_e32 v40, 0x7f800000, v118
	v_lshrrev_b32_e32 v119, 24, v118
	v_cmpx_ne_u64_e32 0x7f800000, v[40:41]
	s_xor_b32 s17, exec_lo, s7
	s_cbranch_execz .LBB2_929
; %bb.916:                              ;   in Loop: Header=BB2_799 Depth=2
	v_and_b32_e32 v40, 0x7fffffff, v118
	v_mov_b32_e32 v41, v65
	v_and_b32_e32 v45, 0x80, v119
                                        ; implicit-def: $vgpr43
	s_mov_b32 s7, exec_lo
	s_delay_alu instid0(VALU_DEP_2)
	v_cmpx_gt_u64_e32 0x43e00001, v[40:41]
	s_xor_b32 s18, exec_lo, s7
	s_cbranch_execz .LBB2_926
; %bb.917:                              ;   in Loop: Header=BB2_799 Depth=2
	v_mov_b32_e32 v43, 0
	s_mov_b32 s19, exec_lo
	v_cmpx_ne_u32_e32 0, v118
	s_cbranch_execz .LBB2_925
; %bb.918:                              ;   in Loop: Header=BB2_799 Depth=2
	v_bfe_u32 v43, v118, 23, 8
	v_and_b32_e32 v40, 0x7fffff, v118
	s_mov_b32 s20, exec_lo
	s_delay_alu instid0(VALU_DEP_2) | instskip(NEXT) | instid1(VALU_DEP_2)
	v_cmp_gt_u32_e32 vcc_lo, 0x7a, v43
	v_or_b32_e32 v41, 0x800000, v40
	v_sub_nc_u32_e32 v119, 0x79, v43
	s_delay_alu instid0(VALU_DEP_1) | instskip(SKIP_1) | instid1(VALU_DEP_2)
	v_cndmask_b32_e32 v119, 0, v119, vcc_lo
	v_cmp_eq_u32_e32 vcc_lo, 0, v43
	v_cndmask_b32_e64 v46, v119, 0x78, vcc_lo
	v_cndmask_b32_e32 v40, v41, v40, vcc_lo
	s_delay_alu instid0(VALU_DEP_2) | instskip(SKIP_1) | instid1(VALU_DEP_2)
	v_dual_mov_b32 v41, v65 :: v_dual_add_nc_u32 v47, 19, v46
	v_add_nc_u32_e32 v118, 20, v46
	v_lshlrev_b64_e64 v[62:63], v47, 1
	s_delay_alu instid0(VALU_DEP_2) | instskip(NEXT) | instid1(VALU_DEP_1)
	v_lshlrev_b64_e64 v[118:119], v118, -1
	v_bfi_b32 v73, v119, 0, 0
	s_delay_alu instid0(VALU_DEP_2) | instskip(SKIP_1) | instid1(VALU_DEP_1)
	v_bfi_b32 v72, v118, 0, v40
	v_lshrrev_b64 v[118:119], v46, v[40:41]
	v_mov_b64_e32 v[40:41], v[118:119]
	s_delay_alu instid0(VALU_DEP_3)
	v_cmpx_eq_u64_e64 v[72:73], v[62:63]
; %bb.919:                              ;   in Loop: Header=BB2_799 Depth=2
	v_bfe_u32 v40, v118, 20, 1
	v_mov_b32_e32 v41, v65
	s_delay_alu instid0(VALU_DEP_1) | instskip(NEXT) | instid1(VALU_DEP_1)
	v_add_nc_u64_e32 v[40:41], v[118:119], v[40:41]
	v_add_nc_u64_e32 v[40:41], -1, v[40:41]
; %bb.920:                              ;   in Loop: Header=BB2_799 Depth=2
	s_or_b32 exec_lo, exec_lo, s20
	v_add_nc_u32_e32 v119, 0xffffff81, v43
	v_lshrrev_b32_e32 v41, 23, v118
	s_mov_b32 s7, exec_lo
	s_delay_alu instid0(VALU_DEP_2) | instskip(NEXT) | instid1(VALU_DEP_1)
	v_cndmask_b32_e64 v119, v119, 0xffffff82, vcc_lo
	v_add3_u32 v41, v46, v119, v41
	v_and_b32_e32 v119, 0xfffff, v40
                                        ; implicit-def: $vgpr40
	s_delay_alu instid0(VALU_DEP_1) | instskip(SKIP_1) | instid1(VALU_DEP_2)
	v_dual_add_nc_u32 v43, 6, v41 :: v_dual_add_nc_u32 v118, v119, v118
	v_mov_b32_e32 v119, v65
	v_cmpx_ne_u32_e32 0, v43
	s_xor_b32 s7, exec_lo, s7
; %bb.921:                              ;   in Loop: Header=BB2_799 Depth=2
	s_delay_alu instid0(VALU_DEP_2) | instskip(SKIP_2) | instid1(VALU_DEP_2)
	v_cmp_lt_u64_e32 vcc_lo, 0xffffff, v[118:119]
	v_add_nc_u32_e32 v40, 7, v41
	v_cndmask_b32_e64 v41, 0, 1, vcc_lo
	v_cndmask_b32_e32 v40, v43, v40, vcc_lo
	s_delay_alu instid0(VALU_DEP_2)
	v_lshrrev_b64 v[118:119], v41, v[118:119]
; %bb.922:                              ;   in Loop: Header=BB2_799 Depth=2
	s_and_not1_saveexec_b32 s7, s7
; %bb.923:                              ;   in Loop: Header=BB2_799 Depth=2
	s_delay_alu instid0(VALU_DEP_1)
	v_bfe_u32 v40, v118, 23, 1
; %bb.924:                              ;   in Loop: Header=BB2_799 Depth=2
	s_or_b32 exec_lo, exec_lo, s7
	s_delay_alu instid0(VALU_DEP_2) | instskip(NEXT) | instid1(VALU_DEP_2)
	v_lshrrev_b64 v[118:119], 20, v[118:119]
	v_cmp_gt_i32_e32 vcc_lo, 16, v40
	v_min_i32_e32 v41, 15, v40
	v_cmp_eq_u32_e64 s7, 0, v40
	s_delay_alu instid0(VALU_DEP_2) | instskip(SKIP_1) | instid1(VALU_DEP_2)
	v_dual_cndmask_b32 v119, 0, v119, vcc_lo :: v_dual_lshlrev_b32 v41, 3, v41
	v_cndmask_b32_e32 v118, 7, v118, vcc_lo
	v_and_b32_e32 v41, 0xf8, v41
	s_delay_alu instid0(VALU_DEP_2) | instskip(NEXT) | instid1(VALU_DEP_2)
	v_cmp_eq_u64_e32 vcc_lo, 0, v[118:119]
	v_and_or_b32 v118, v118, 7, v41
	s_and_b32 s7, s7, vcc_lo
	s_delay_alu instid0(VALU_DEP_1) | instid1(SALU_CYCLE_1)
	v_cndmask_b32_e64 v118, v118, 0, s7
	s_delay_alu instid0(VALU_DEP_1)
	v_or_b32_e32 v43, v118, v45
.LBB2_925:                              ;   in Loop: Header=BB2_799 Depth=2
	s_or_b32 exec_lo, exec_lo, s19
                                        ; implicit-def: $vgpr45
.LBB2_926:                              ;   in Loop: Header=BB2_799 Depth=2
	s_and_not1_saveexec_b32 s7, s18
; %bb.927:                              ;   in Loop: Header=BB2_799 Depth=2
	v_or_b32_e32 v43, 0x7e, v45
; %bb.928:                              ;   in Loop: Header=BB2_799 Depth=2
	s_or_b32 exec_lo, exec_lo, s7
                                        ; implicit-def: $vgpr119
.LBB2_929:                              ;   in Loop: Header=BB2_799 Depth=2
	s_and_not1_saveexec_b32 s7, s17
; %bb.930:                              ;   in Loop: Header=BB2_799 Depth=2
	v_or_b32_e32 v43, 0x7f, v119
; %bb.931:                              ;   in Loop: Header=BB2_799 Depth=2
	s_or_b32 exec_lo, exec_lo, s7
	v_lshrrev_b16 v119, 8, v64
	v_mov_b32_e32 v118, 0
	s_mov_b32 s7, exec_lo
	s_delay_alu instid0(VALU_DEP_2)
	v_cmpx_ne_u16_e32 0, v119
	s_cbranch_execz .LBB2_939
; %bb.932:                              ;   in Loop: Header=BB2_799 Depth=2
	v_bfrev_b32_e32 v118, 1
	s_mov_b32 s17, exec_lo
	v_cmpx_ne_u16_e32 0x80, v119
	s_cbranch_execz .LBB2_938
; %bb.933:                              ;   in Loop: Header=BB2_799 Depth=2
	v_and_b32_e32 v119, 0xffff, v119
	v_mov_b32_e32 v118, 0x7f800001
	s_mov_b32 s18, exec_lo
	s_delay_alu instid0(VALU_DEP_2) | instskip(NEXT) | instid1(VALU_DEP_1)
	v_and_b32_e32 v41, 0x7f, v119
	v_cmpx_ne_u32_e32 0x7f, v41
	s_cbranch_execz .LBB2_937
; %bb.934:                              ;   in Loop: Header=BB2_799 Depth=2
	v_dual_mov_b32 v119, v65 :: v_dual_bitop2_b32 v118, 7, v119 bitop3:0x40
	v_lshrrev_b32_e32 v40, 3, v41
	s_mov_b32 s19, exec_lo
	v_cmpx_gt_u32_e32 8, v41
; %bb.935:                              ;   in Loop: Header=BB2_799 Depth=2
	s_delay_alu instid0(VALU_DEP_3) | instskip(NEXT) | instid1(VALU_DEP_1)
	v_clz_i32_u32_e32 v40, v118
	v_min_u32_e32 v40, 32, v40
	s_delay_alu instid0(VALU_DEP_1) | instskip(NEXT) | instid1(VALU_DEP_1)
	v_subrev_nc_u32_e32 v41, 28, v40
	v_lshlrev_b64_e32 v[118:119], v41, v[118:119]
	s_delay_alu instid0(VALU_DEP_1)
	v_dual_sub_nc_u32 v40, 29, v40 :: v_dual_bitop2_b32 v118, 7, v118 bitop3:0x40
; %bb.936:                              ;   in Loop: Header=BB2_799 Depth=2
	s_or_b32 exec_lo, exec_lo, s19
	s_delay_alu instid0(VALU_DEP_1) | instskip(NEXT) | instid1(VALU_DEP_2)
	v_dual_lshlrev_b32 v119, 16, v64 :: v_dual_lshlrev_b32 v118, 20, v118
	v_lshl_add_u32 v40, v40, 23, 0x3c000000
	s_delay_alu instid0(VALU_DEP_2) | instskip(NEXT) | instid1(VALU_DEP_1)
	v_and_b32_e32 v119, 0x80000000, v119
	v_or3_b32 v118, v118, v119, v40
.LBB2_937:                              ;   in Loop: Header=BB2_799 Depth=2
	s_or_b32 exec_lo, exec_lo, s18
.LBB2_938:                              ;   in Loop: Header=BB2_799 Depth=2
	s_delay_alu instid0(SALU_CYCLE_1)
	s_or_b32 exec_lo, exec_lo, s17
.LBB2_939:                              ;   in Loop: Header=BB2_799 Depth=2
	s_delay_alu instid0(SALU_CYCLE_1) | instskip(NEXT) | instid1(VALU_DEP_1)
	s_or_b32 exec_lo, exec_lo, s7
	v_dual_mul_f32 v118, v30, v118 :: v_dual_mov_b32 v41, v65
                                        ; implicit-def: $vgpr45
	s_mov_b32 s7, exec_lo
	s_delay_alu instid0(VALU_DEP_1) | instskip(SKIP_1) | instid1(VALU_DEP_2)
	v_and_b32_e32 v40, 0x7f800000, v118
	v_lshrrev_b32_e32 v119, 24, v118
	v_cmpx_ne_u64_e32 0x7f800000, v[40:41]
	s_xor_b32 s17, exec_lo, s7
	s_cbranch_execz .LBB2_953
; %bb.940:                              ;   in Loop: Header=BB2_799 Depth=2
	v_and_b32_e32 v40, 0x7fffffff, v118
	v_mov_b32_e32 v41, v65
	v_and_b32_e32 v46, 0x80, v119
                                        ; implicit-def: $vgpr45
	s_mov_b32 s7, exec_lo
	s_delay_alu instid0(VALU_DEP_2)
	v_cmpx_gt_u64_e32 0x43e00001, v[40:41]
	s_xor_b32 s18, exec_lo, s7
	s_cbranch_execz .LBB2_950
; %bb.941:                              ;   in Loop: Header=BB2_799 Depth=2
	v_mov_b32_e32 v45, 0
	s_mov_b32 s19, exec_lo
	v_cmpx_ne_u32_e32 0, v118
	s_cbranch_execz .LBB2_949
; %bb.942:                              ;   in Loop: Header=BB2_799 Depth=2
	v_bfe_u32 v45, v118, 23, 8
	v_and_b32_e32 v119, 0x7fffff, v118
	s_delay_alu instid0(VALU_DEP_2) | instskip(SKIP_2) | instid1(VALU_DEP_4)
	v_cmp_gt_u32_e64 s7, 0x7a, v45
	v_sub_nc_u32_e32 v118, 0x79, v45
	v_cmp_eq_u32_e32 vcc_lo, 0, v45
	v_or_b32_e32 v40, 0x800000, v119
	s_delay_alu instid0(VALU_DEP_3) | instskip(NEXT) | instid1(VALU_DEP_1)
	v_cndmask_b32_e64 v118, 0, v118, s7
	v_cndmask_b32_e64 v47, v118, 0x78, vcc_lo
	s_delay_alu instid0(VALU_DEP_3) | instskip(NEXT) | instid1(VALU_DEP_2)
	v_dual_cndmask_b32 v118, v40, v119 :: v_dual_mov_b32 v119, v65
	v_dual_add_nc_u32 v40, 20, v47 :: v_dual_add_nc_u32 v61, 19, v47
	s_delay_alu instid0(VALU_DEP_1) | instskip(NEXT) | instid1(VALU_DEP_2)
	v_lshlrev_b64_e64 v[40:41], v40, -1
	v_lshlrev_b64_e64 v[62:63], v61, 1
	s_delay_alu instid0(VALU_DEP_2) | instskip(SKIP_1) | instid1(VALU_DEP_4)
	v_bfi_b32 v40, v40, 0, v118
	v_lshrrev_b64 v[118:119], v47, v[118:119]
	v_bfi_b32 v41, v41, 0, 0
	s_delay_alu instid0(VALU_DEP_1) | instskip(NEXT) | instid1(VALU_DEP_3)
	v_cmp_eq_u64_e64 s7, v[40:41], v[62:63]
	v_mov_b64_e32 v[40:41], v[118:119]
	s_and_saveexec_b32 s20, s7
; %bb.943:                              ;   in Loop: Header=BB2_799 Depth=2
	v_bfe_u32 v40, v118, 20, 1
	v_mov_b32_e32 v41, v65
	s_delay_alu instid0(VALU_DEP_1) | instskip(NEXT) | instid1(VALU_DEP_1)
	v_add_nc_u64_e32 v[40:41], v[118:119], v[40:41]
	v_add_nc_u64_e32 v[40:41], -1, v[40:41]
; %bb.944:                              ;   in Loop: Header=BB2_799 Depth=2
	s_or_b32 exec_lo, exec_lo, s20
	v_add_nc_u32_e32 v119, 0xffffff81, v45
	v_lshrrev_b32_e32 v41, 23, v118
	s_mov_b32 s7, exec_lo
	s_delay_alu instid0(VALU_DEP_2) | instskip(NEXT) | instid1(VALU_DEP_1)
	v_cndmask_b32_e64 v119, v119, 0xffffff82, vcc_lo
	v_add3_u32 v41, v47, v119, v41
	v_and_b32_e32 v119, 0xfffff, v40
                                        ; implicit-def: $vgpr40
	s_delay_alu instid0(VALU_DEP_1) | instskip(SKIP_1) | instid1(VALU_DEP_2)
	v_dual_add_nc_u32 v45, 6, v41 :: v_dual_add_nc_u32 v118, v119, v118
	v_mov_b32_e32 v119, v65
	v_cmpx_ne_u32_e32 0, v45
	s_xor_b32 s7, exec_lo, s7
; %bb.945:                              ;   in Loop: Header=BB2_799 Depth=2
	s_delay_alu instid0(VALU_DEP_2) | instskip(SKIP_2) | instid1(VALU_DEP_2)
	v_cmp_lt_u64_e32 vcc_lo, 0xffffff, v[118:119]
	v_add_nc_u32_e32 v40, 7, v41
	v_cndmask_b32_e64 v41, 0, 1, vcc_lo
	v_cndmask_b32_e32 v40, v45, v40, vcc_lo
	s_delay_alu instid0(VALU_DEP_2)
	v_lshrrev_b64 v[118:119], v41, v[118:119]
; %bb.946:                              ;   in Loop: Header=BB2_799 Depth=2
	s_and_not1_saveexec_b32 s7, s7
; %bb.947:                              ;   in Loop: Header=BB2_799 Depth=2
	s_delay_alu instid0(VALU_DEP_1)
	v_bfe_u32 v40, v118, 23, 1
; %bb.948:                              ;   in Loop: Header=BB2_799 Depth=2
	s_or_b32 exec_lo, exec_lo, s7
	s_delay_alu instid0(VALU_DEP_2) | instskip(NEXT) | instid1(VALU_DEP_2)
	v_lshrrev_b64 v[118:119], 20, v[118:119]
	v_cmp_gt_i32_e32 vcc_lo, 16, v40
	v_min_i32_e32 v41, 15, v40
	v_cmp_eq_u32_e64 s7, 0, v40
	s_delay_alu instid0(VALU_DEP_2) | instskip(SKIP_1) | instid1(VALU_DEP_2)
	v_dual_cndmask_b32 v119, 0, v119, vcc_lo :: v_dual_lshlrev_b32 v41, 3, v41
	v_cndmask_b32_e32 v118, 7, v118, vcc_lo
	v_and_b32_e32 v41, 0xf8, v41
	s_delay_alu instid0(VALU_DEP_2) | instskip(NEXT) | instid1(VALU_DEP_2)
	v_cmp_eq_u64_e32 vcc_lo, 0, v[118:119]
	v_and_or_b32 v118, v118, 7, v41
	s_and_b32 s7, s7, vcc_lo
	s_delay_alu instid0(VALU_DEP_1) | instid1(SALU_CYCLE_1)
	v_cndmask_b32_e64 v118, v118, 0, s7
	s_delay_alu instid0(VALU_DEP_1)
	v_or_b32_e32 v45, v118, v46
.LBB2_949:                              ;   in Loop: Header=BB2_799 Depth=2
	s_or_b32 exec_lo, exec_lo, s19
                                        ; implicit-def: $vgpr46
.LBB2_950:                              ;   in Loop: Header=BB2_799 Depth=2
	s_and_not1_saveexec_b32 s7, s18
; %bb.951:                              ;   in Loop: Header=BB2_799 Depth=2
	v_or_b32_e32 v45, 0x7e, v46
; %bb.952:                              ;   in Loop: Header=BB2_799 Depth=2
	s_or_b32 exec_lo, exec_lo, s7
                                        ; implicit-def: $vgpr119
.LBB2_953:                              ;   in Loop: Header=BB2_799 Depth=2
	s_and_not1_saveexec_b32 s7, s17
; %bb.954:                              ;   in Loop: Header=BB2_799 Depth=2
	v_or_b32_e32 v45, 0x7f, v119
; %bb.955:                              ;   in Loop: Header=BB2_799 Depth=2
	s_or_b32 exec_lo, exec_lo, s7
	v_dual_lshrrev_b32 v40, 16, v64 :: v_dual_mov_b32 v118, 0
	s_mov_b32 s7, exec_lo
	s_delay_alu instid0(VALU_DEP_1) | instskip(NEXT) | instid1(VALU_DEP_1)
	v_and_b32_e32 v119, 0xff, v40
	v_cmpx_ne_u16_e32 0, v119
	s_cbranch_execz .LBB2_963
; %bb.956:                              ;   in Loop: Header=BB2_799 Depth=2
	v_bfrev_b32_e32 v118, 1
	s_mov_b32 s17, exec_lo
	v_cmpx_ne_u16_e32 0x80, v119
	s_cbranch_execz .LBB2_962
; %bb.957:                              ;   in Loop: Header=BB2_799 Depth=2
	v_bfe_u32 v46, v64, 16, 7
	v_mov_b32_e32 v118, 0x7f800001
	s_mov_b32 s18, exec_lo
	s_delay_alu instid0(VALU_DEP_2)
	v_cmpx_ne_u32_e32 0x7f, v46
	s_cbranch_execz .LBB2_961
; %bb.958:                              ;   in Loop: Header=BB2_799 Depth=2
	v_dual_mov_b32 v119, v65 :: v_dual_bitop2_b32 v118, 7, v40 bitop3:0x40
	v_lshrrev_b32_e32 v41, 3, v46
	s_mov_b32 s19, exec_lo
	v_cmpx_gt_u32_e32 8, v46
; %bb.959:                              ;   in Loop: Header=BB2_799 Depth=2
	s_delay_alu instid0(VALU_DEP_3) | instskip(NEXT) | instid1(VALU_DEP_1)
	v_clz_i32_u32_e32 v41, v118
	v_min_u32_e32 v41, 32, v41
	s_delay_alu instid0(VALU_DEP_1) | instskip(NEXT) | instid1(VALU_DEP_1)
	v_subrev_nc_u32_e32 v46, 28, v41
	v_lshlrev_b64_e32 v[118:119], v46, v[118:119]
	s_delay_alu instid0(VALU_DEP_1)
	v_dual_sub_nc_u32 v41, 29, v41 :: v_dual_bitop2_b32 v118, 7, v118 bitop3:0x40
; %bb.960:                              ;   in Loop: Header=BB2_799 Depth=2
	s_or_b32 exec_lo, exec_lo, s19
	s_delay_alu instid0(VALU_DEP_1) | instskip(NEXT) | instid1(VALU_DEP_2)
	v_dual_lshlrev_b32 v119, 24, v40 :: v_dual_lshlrev_b32 v118, 20, v118
	v_lshl_add_u32 v40, v41, 23, 0x3c000000
	s_delay_alu instid0(VALU_DEP_2) | instskip(NEXT) | instid1(VALU_DEP_1)
	v_and_b32_e32 v119, 0x80000000, v119
	v_or3_b32 v118, v118, v119, v40
.LBB2_961:                              ;   in Loop: Header=BB2_799 Depth=2
	s_or_b32 exec_lo, exec_lo, s18
.LBB2_962:                              ;   in Loop: Header=BB2_799 Depth=2
	s_delay_alu instid0(SALU_CYCLE_1)
	s_or_b32 exec_lo, exec_lo, s17
.LBB2_963:                              ;   in Loop: Header=BB2_799 Depth=2
	s_delay_alu instid0(SALU_CYCLE_1) | instskip(NEXT) | instid1(VALU_DEP_1)
	s_or_b32 exec_lo, exec_lo, s7
	v_dual_mul_f32 v118, v30, v118 :: v_dual_mov_b32 v41, v65
                                        ; implicit-def: $vgpr46
	s_mov_b32 s7, exec_lo
	s_delay_alu instid0(VALU_DEP_1) | instskip(SKIP_1) | instid1(VALU_DEP_2)
	v_and_b32_e32 v40, 0x7f800000, v118
	v_lshrrev_b32_e32 v119, 24, v118
	v_cmpx_ne_u64_e32 0x7f800000, v[40:41]
	s_xor_b32 s17, exec_lo, s7
	s_cbranch_execz .LBB2_977
; %bb.964:                              ;   in Loop: Header=BB2_799 Depth=2
	v_and_b32_e32 v40, 0x7fffffff, v118
	v_mov_b32_e32 v41, v65
	v_and_b32_e32 v47, 0x80, v119
                                        ; implicit-def: $vgpr46
	s_mov_b32 s7, exec_lo
	s_delay_alu instid0(VALU_DEP_2)
	v_cmpx_gt_u64_e32 0x43e00001, v[40:41]
	s_xor_b32 s18, exec_lo, s7
	s_cbranch_execz .LBB2_974
; %bb.965:                              ;   in Loop: Header=BB2_799 Depth=2
	v_mov_b32_e32 v46, 0
	s_mov_b32 s19, exec_lo
	v_cmpx_ne_u32_e32 0, v118
	s_cbranch_execz .LBB2_973
; %bb.966:                              ;   in Loop: Header=BB2_799 Depth=2
	v_bfe_u32 v46, v118, 23, 8
	v_and_b32_e32 v40, 0x7fffff, v118
	s_mov_b32 s20, exec_lo
	s_delay_alu instid0(VALU_DEP_2) | instskip(SKIP_1) | instid1(VALU_DEP_3)
	v_cmp_gt_u32_e64 s7, 0x7a, v46
	v_cmp_eq_u32_e32 vcc_lo, 0, v46
	v_or_b32_e32 v41, 0x800000, v40
	s_delay_alu instid0(VALU_DEP_1) | instskip(NEXT) | instid1(VALU_DEP_1)
	v_dual_cndmask_b32 v40, v41, v40 :: v_dual_sub_nc_u32 v119, 0x79, v46
	v_dual_cndmask_b32 v119, 0, v119, s7 :: v_dual_mov_b32 v41, v65
	s_delay_alu instid0(VALU_DEP_1) | instskip(NEXT) | instid1(VALU_DEP_1)
	v_cndmask_b32_e64 v61, v119, 0x78, vcc_lo
	v_dual_add_nc_u32 v118, 20, v61 :: v_dual_add_nc_u32 v62, 19, v61
	s_delay_alu instid0(VALU_DEP_1) | instskip(NEXT) | instid1(VALU_DEP_2)
	v_lshlrev_b64_e64 v[118:119], v118, -1
	v_lshlrev_b64_e64 v[62:63], v62, 1
	s_delay_alu instid0(VALU_DEP_2) | instskip(NEXT) | instid1(VALU_DEP_3)
	v_bfi_b32 v73, v119, 0, 0
	v_bfi_b32 v72, v118, 0, v40
	v_lshrrev_b64 v[118:119], v61, v[40:41]
	s_delay_alu instid0(VALU_DEP_1) | instskip(NEXT) | instid1(VALU_DEP_3)
	v_mov_b64_e32 v[40:41], v[118:119]
	v_cmpx_eq_u64_e64 v[72:73], v[62:63]
; %bb.967:                              ;   in Loop: Header=BB2_799 Depth=2
	v_bfe_u32 v40, v118, 20, 1
	v_mov_b32_e32 v41, v65
	s_delay_alu instid0(VALU_DEP_1) | instskip(NEXT) | instid1(VALU_DEP_1)
	v_add_nc_u64_e32 v[40:41], v[118:119], v[40:41]
	v_add_nc_u64_e32 v[40:41], -1, v[40:41]
; %bb.968:                              ;   in Loop: Header=BB2_799 Depth=2
	s_or_b32 exec_lo, exec_lo, s20
	v_add_nc_u32_e32 v119, 0xffffff81, v46
	v_lshrrev_b32_e32 v41, 23, v118
	s_mov_b32 s7, exec_lo
	s_delay_alu instid0(VALU_DEP_2) | instskip(NEXT) | instid1(VALU_DEP_1)
	v_cndmask_b32_e64 v119, v119, 0xffffff82, vcc_lo
	v_add3_u32 v41, v61, v119, v41
	v_and_b32_e32 v119, 0xfffff, v40
                                        ; implicit-def: $vgpr40
	s_delay_alu instid0(VALU_DEP_1) | instskip(SKIP_1) | instid1(VALU_DEP_2)
	v_dual_add_nc_u32 v46, 6, v41 :: v_dual_add_nc_u32 v118, v119, v118
	v_mov_b32_e32 v119, v65
	v_cmpx_ne_u32_e32 0, v46
	s_xor_b32 s7, exec_lo, s7
; %bb.969:                              ;   in Loop: Header=BB2_799 Depth=2
	s_delay_alu instid0(VALU_DEP_2) | instskip(SKIP_2) | instid1(VALU_DEP_2)
	v_cmp_lt_u64_e32 vcc_lo, 0xffffff, v[118:119]
	v_add_nc_u32_e32 v40, 7, v41
	v_cndmask_b32_e64 v41, 0, 1, vcc_lo
	v_cndmask_b32_e32 v40, v46, v40, vcc_lo
	s_delay_alu instid0(VALU_DEP_2)
	v_lshrrev_b64 v[118:119], v41, v[118:119]
; %bb.970:                              ;   in Loop: Header=BB2_799 Depth=2
	s_and_not1_saveexec_b32 s7, s7
; %bb.971:                              ;   in Loop: Header=BB2_799 Depth=2
	s_delay_alu instid0(VALU_DEP_1)
	v_bfe_u32 v40, v118, 23, 1
; %bb.972:                              ;   in Loop: Header=BB2_799 Depth=2
	s_or_b32 exec_lo, exec_lo, s7
	s_delay_alu instid0(VALU_DEP_2) | instskip(NEXT) | instid1(VALU_DEP_2)
	v_lshrrev_b64 v[118:119], 20, v[118:119]
	v_cmp_gt_i32_e32 vcc_lo, 16, v40
	v_min_i32_e32 v41, 15, v40
	v_cmp_eq_u32_e64 s7, 0, v40
	s_delay_alu instid0(VALU_DEP_2) | instskip(SKIP_1) | instid1(VALU_DEP_2)
	v_dual_cndmask_b32 v119, 0, v119, vcc_lo :: v_dual_lshlrev_b32 v41, 3, v41
	v_cndmask_b32_e32 v118, 7, v118, vcc_lo
	v_and_b32_e32 v41, 0xf8, v41
	s_delay_alu instid0(VALU_DEP_2) | instskip(NEXT) | instid1(VALU_DEP_2)
	v_cmp_eq_u64_e32 vcc_lo, 0, v[118:119]
	v_and_or_b32 v118, v118, 7, v41
	s_and_b32 s7, s7, vcc_lo
	s_delay_alu instid0(VALU_DEP_1) | instid1(SALU_CYCLE_1)
	v_cndmask_b32_e64 v118, v118, 0, s7
	s_delay_alu instid0(VALU_DEP_1)
	v_or_b32_e32 v46, v118, v47
.LBB2_973:                              ;   in Loop: Header=BB2_799 Depth=2
	s_or_b32 exec_lo, exec_lo, s19
                                        ; implicit-def: $vgpr47
.LBB2_974:                              ;   in Loop: Header=BB2_799 Depth=2
	s_and_not1_saveexec_b32 s7, s18
; %bb.975:                              ;   in Loop: Header=BB2_799 Depth=2
	v_or_b32_e32 v46, 0x7e, v47
; %bb.976:                              ;   in Loop: Header=BB2_799 Depth=2
	s_or_b32 exec_lo, exec_lo, s7
                                        ; implicit-def: $vgpr119
.LBB2_977:                              ;   in Loop: Header=BB2_799 Depth=2
	s_and_not1_saveexec_b32 s7, s17
; %bb.978:                              ;   in Loop: Header=BB2_799 Depth=2
	v_or_b32_e32 v46, 0x7f, v119
; %bb.979:                              ;   in Loop: Header=BB2_799 Depth=2
	s_or_b32 exec_lo, exec_lo, s7
	v_mov_b32_e32 v119, 0
	s_mov_b32 s7, exec_lo
	v_cmpx_lt_u32_e32 0xffffff, v64
	s_cbranch_execz .LBB2_987
; %bb.980:                              ;   in Loop: Header=BB2_799 Depth=2
	v_lshrrev_b32_e32 v118, 24, v64
	v_bfrev_b32_e32 v119, 1
	s_mov_b32 s17, exec_lo
	s_delay_alu instid0(VALU_DEP_2)
	v_cmpx_ne_u32_e32 0x80, v118
	s_cbranch_execz .LBB2_986
; %bb.981:                              ;   in Loop: Header=BB2_799 Depth=2
	v_bfe_u32 v40, v64, 24, 7
	v_mov_b32_e32 v119, 0x7f800001
	s_mov_b32 s18, exec_lo
	s_delay_alu instid0(VALU_DEP_2)
	v_cmpx_ne_u32_e32 0x7f, v40
	s_cbranch_execz .LBB2_985
; %bb.982:                              ;   in Loop: Header=BB2_799 Depth=2
	v_dual_lshrrev_b32 v119, 3, v40 :: v_dual_bitop2_b32 v64, 7, v118 bitop3:0x40
	s_mov_b32 s19, exec_lo
	v_cmpx_gt_u32_e32 8, v40
; %bb.983:                              ;   in Loop: Header=BB2_799 Depth=2
	s_delay_alu instid0(VALU_DEP_2) | instskip(NEXT) | instid1(VALU_DEP_1)
	v_clz_i32_u32_e32 v119, v64
	v_min_u32_e32 v119, 32, v119
	s_delay_alu instid0(VALU_DEP_1) | instskip(NEXT) | instid1(VALU_DEP_1)
	v_subrev_nc_u32_e32 v40, 28, v119
	v_lshlrev_b64_e32 v[40:41], v40, v[64:65]
	s_delay_alu instid0(VALU_DEP_1)
	v_dual_sub_nc_u32 v119, 29, v119 :: v_dual_bitop2_b32 v64, 7, v40 bitop3:0x40
; %bb.984:                              ;   in Loop: Header=BB2_799 Depth=2
	s_or_b32 exec_lo, exec_lo, s19
	s_delay_alu instid0(VALU_DEP_1) | instskip(NEXT) | instid1(VALU_DEP_2)
	v_dual_lshlrev_b32 v118, 24, v118 :: v_dual_lshlrev_b32 v64, 20, v64
	v_lshl_add_u32 v119, v119, 23, 0x3c000000
	s_delay_alu instid0(VALU_DEP_2) | instskip(NEXT) | instid1(VALU_DEP_1)
	v_and_b32_e32 v118, 0x80000000, v118
	v_or3_b32 v119, v64, v118, v119
.LBB2_985:                              ;   in Loop: Header=BB2_799 Depth=2
	s_or_b32 exec_lo, exec_lo, s18
.LBB2_986:                              ;   in Loop: Header=BB2_799 Depth=2
	s_delay_alu instid0(SALU_CYCLE_1)
	s_or_b32 exec_lo, exec_lo, s17
.LBB2_987:                              ;   in Loop: Header=BB2_799 Depth=2
	s_delay_alu instid0(SALU_CYCLE_1) | instskip(NEXT) | instid1(VALU_DEP_1)
	s_or_b32 exec_lo, exec_lo, s7
	v_mul_f32_e32 v118, v30, v119
                                        ; implicit-def: $vgpr47
	s_mov_b32 s7, exec_lo
	s_delay_alu instid0(VALU_DEP_1) | instskip(SKIP_1) | instid1(VALU_DEP_2)
	v_and_b32_e32 v64, 0x7f800000, v118
	v_lshrrev_b32_e32 v119, 24, v118
	v_cmpx_ne_u64_e32 0x7f800000, v[64:65]
	s_xor_b32 s17, exec_lo, s7
	s_cbranch_execz .LBB2_1001
; %bb.988:                              ;   in Loop: Header=BB2_799 Depth=2
	v_and_b32_e32 v64, 0x7fffffff, v118
	v_and_b32_e32 v61, 0x80, v119
                                        ; implicit-def: $vgpr47
	s_mov_b32 s7, exec_lo
	s_delay_alu instid0(VALU_DEP_2)
	v_cmpx_gt_u64_e32 0x43e00001, v[64:65]
	s_xor_b32 s18, exec_lo, s7
	s_cbranch_execz .LBB2_998
; %bb.989:                              ;   in Loop: Header=BB2_799 Depth=2
	v_mov_b32_e32 v47, 0
	s_mov_b32 s19, exec_lo
	v_cmpx_ne_u32_e32 0, v118
	s_cbranch_execz .LBB2_997
; %bb.990:                              ;   in Loop: Header=BB2_799 Depth=2
	v_bfe_u32 v47, v118, 23, 8
	s_delay_alu instid0(VALU_DEP_1) | instskip(SKIP_1) | instid1(VALU_DEP_2)
	v_sub_nc_u32_e32 v64, 0x79, v47
	v_cmp_gt_u32_e32 vcc_lo, 0x7a, v47
	v_cndmask_b32_e32 v64, 0, v64, vcc_lo
	v_cmp_eq_u32_e32 vcc_lo, 0, v47
	s_delay_alu instid0(VALU_DEP_2) | instskip(SKIP_1) | instid1(VALU_DEP_2)
	v_cndmask_b32_e64 v62, v64, 0x78, vcc_lo
	v_and_b32_e32 v64, 0x7fffff, v118
	v_add_nc_u32_e32 v118, 20, v62
	s_delay_alu instid0(VALU_DEP_2) | instskip(SKIP_1) | instid1(VALU_DEP_3)
	v_or_b32_e32 v40, 0x800000, v64
	v_add_nc_u32_e32 v41, 19, v62
	v_lshlrev_b64_e64 v[118:119], v118, -1
	s_delay_alu instid0(VALU_DEP_3) | instskip(NEXT) | instid1(VALU_DEP_3)
	v_cndmask_b32_e32 v64, v40, v64, vcc_lo
	v_lshlrev_b64_e64 v[40:41], v41, 1
	s_delay_alu instid0(VALU_DEP_3) | instskip(NEXT) | instid1(VALU_DEP_3)
	v_bfi_b32 v73, v119, 0, 0
	v_bfi_b32 v72, v118, 0, v64
	v_lshrrev_b64 v[118:119], v62, v[64:65]
	s_delay_alu instid0(VALU_DEP_2) | instskip(NEXT) | instid1(VALU_DEP_2)
	v_cmp_eq_u64_e64 s7, v[72:73], v[40:41]
	v_mov_b64_e32 v[40:41], v[118:119]
	s_and_saveexec_b32 s20, s7
; %bb.991:                              ;   in Loop: Header=BB2_799 Depth=2
	v_bfe_u32 v64, v118, 20, 1
	s_delay_alu instid0(VALU_DEP_1) | instskip(NEXT) | instid1(VALU_DEP_1)
	v_add_nc_u64_e32 v[40:41], v[118:119], v[64:65]
	v_add_nc_u64_e32 v[40:41], -1, v[40:41]
; %bb.992:                              ;   in Loop: Header=BB2_799 Depth=2
	s_or_b32 exec_lo, exec_lo, s20
	v_add_nc_u32_e32 v64, 0xffffff81, v47
	v_lshrrev_b32_e32 v119, 23, v118
	s_mov_b32 s7, exec_lo
	s_delay_alu instid0(VALU_DEP_2) | instskip(NEXT) | instid1(VALU_DEP_1)
	v_cndmask_b32_e64 v64, v64, 0xffffff82, vcc_lo
	v_add3_u32 v41, v62, v64, v119
	v_and_b32_e32 v64, 0xfffff, v40
                                        ; implicit-def: $vgpr40
	s_delay_alu instid0(VALU_DEP_1) | instskip(NEXT) | instid1(VALU_DEP_1)
	v_dual_add_nc_u32 v47, 6, v41 :: v_dual_add_nc_u32 v64, v64, v118
                                        ; implicit-def: $vgpr118_vgpr119
	v_cmpx_ne_u32_e32 0, v47
	s_xor_b32 s7, exec_lo, s7
; %bb.993:                              ;   in Loop: Header=BB2_799 Depth=2
	s_delay_alu instid0(VALU_DEP_2) | instskip(SKIP_1) | instid1(VALU_DEP_1)
	v_cmp_lt_u64_e32 vcc_lo, 0xffffff, v[64:65]
	v_add_nc_u32_e32 v118, 7, v41
	v_cndmask_b32_e32 v40, v47, v118, vcc_lo
	v_cndmask_b32_e64 v118, 0, 1, vcc_lo
	s_delay_alu instid0(VALU_DEP_1)
	v_lshrrev_b64 v[118:119], v118, v[64:65]
; %bb.994:                              ;   in Loop: Header=BB2_799 Depth=2
	s_and_not1_saveexec_b32 s7, s7
; %bb.995:                              ;   in Loop: Header=BB2_799 Depth=2
	v_mov_b64_e32 v[118:119], v[64:65]
	v_bfe_u32 v40, v64, 23, 1
; %bb.996:                              ;   in Loop: Header=BB2_799 Depth=2
	s_or_b32 exec_lo, exec_lo, s7
	s_delay_alu instid0(VALU_DEP_2) | instskip(NEXT) | instid1(VALU_DEP_2)
	v_lshrrev_b64 v[118:119], 20, v[118:119]
	v_cmp_gt_i32_e32 vcc_lo, 16, v40
	v_min_i32_e32 v64, 15, v40
	v_cmp_eq_u32_e64 s7, 0, v40
	s_delay_alu instid0(VALU_DEP_2) | instskip(SKIP_1) | instid1(VALU_DEP_2)
	v_dual_cndmask_b32 v119, 0, v119 :: v_dual_lshlrev_b32 v64, 3, v64
	v_cndmask_b32_e32 v118, 7, v118, vcc_lo
	v_and_b32_e32 v64, 0xf8, v64
	s_delay_alu instid0(VALU_DEP_2) | instskip(NEXT) | instid1(VALU_DEP_2)
	v_cmp_eq_u64_e32 vcc_lo, 0, v[118:119]
	v_and_or_b32 v64, v118, 7, v64
	s_and_b32 s7, s7, vcc_lo
	s_delay_alu instid0(VALU_DEP_1) | instid1(SALU_CYCLE_1)
	v_cndmask_b32_e64 v64, v64, 0, s7
	s_delay_alu instid0(VALU_DEP_1)
	v_or_b32_e32 v47, v64, v61
.LBB2_997:                              ;   in Loop: Header=BB2_799 Depth=2
	s_or_b32 exec_lo, exec_lo, s19
                                        ; implicit-def: $vgpr61
.LBB2_998:                              ;   in Loop: Header=BB2_799 Depth=2
	s_and_not1_saveexec_b32 s7, s18
; %bb.999:                              ;   in Loop: Header=BB2_799 Depth=2
	v_or_b32_e32 v47, 0x7e, v61
; %bb.1000:                             ;   in Loop: Header=BB2_799 Depth=2
	s_or_b32 exec_lo, exec_lo, s7
                                        ; implicit-def: $vgpr119
.LBB2_1001:                             ;   in Loop: Header=BB2_799 Depth=2
	s_and_not1_saveexec_b32 s7, s17
; %bb.1002:                             ;   in Loop: Header=BB2_799 Depth=2
	v_or_b32_e32 v47, 0x7f, v119
; %bb.1003:                             ;   in Loop: Header=BB2_799 Depth=2
	s_or_b32 exec_lo, exec_lo, s7
	s_wait_loadcnt 0x0
	v_and_b32_e32 v64, 0xff, v2
	v_dual_mov_b32 v118, 0 :: v_dual_mov_b32 v119, 0
	s_mov_b32 s7, exec_lo
	s_delay_alu instid0(VALU_DEP_2)
	v_cmpx_ne_u16_e32 0, v64
	s_cbranch_execz .LBB2_1009
; %bb.1004:                             ;   in Loop: Header=BB2_799 Depth=2
	v_bfrev_b32_e32 v119, 1
	s_mov_b32 s17, exec_lo
	v_cmpx_ne_u16_e32 0x80, v64
	s_cbranch_execz .LBB2_1008
; %bb.1005:                             ;   in Loop: Header=BB2_799 Depth=2
	v_and_b32_e32 v64, 0x7f, v2
	v_mov_b32_e32 v119, 0x7f800001
	s_mov_b32 s18, exec_lo
	s_delay_alu instid0(VALU_DEP_2)
	v_cmpx_ne_u32_e32 0x7f, v64
	s_cbranch_execz .LBB2_1007
; %bb.1006:                             ;   in Loop: Header=BB2_799 Depth=2
	v_dual_lshrrev_b32 v40, 3, v64 :: v_dual_bitop2_b32 v119, 7, v2 bitop3:0x40
	v_cmp_gt_u32_e32 vcc_lo, 8, v64
	s_delay_alu instid0(VALU_DEP_2) | instskip(NEXT) | instid1(VALU_DEP_1)
	v_clz_i32_u32_e32 v119, v119
	v_min_u32_e32 v119, 32, v119
	s_delay_alu instid0(VALU_DEP_1) | instskip(SKIP_1) | instid1(VALU_DEP_1)
	v_subrev_nc_u32_e32 v41, 28, v119
	v_sub_nc_u32_e32 v119, 29, v119
	v_dual_cndmask_b32 v64, v40, v119 :: v_dual_cndmask_b32 v119, 0, v41
	s_delay_alu instid0(VALU_DEP_1) | instskip(NEXT) | instid1(VALU_DEP_2)
	v_lshl_add_u32 v64, v64, 23, 0x3c000000
	v_lshlrev_b64_e32 v[40:41], v119, v[2:3]
	v_lshlrev_b32_e32 v3, 24, v2
	s_delay_alu instid0(VALU_DEP_1) | instskip(NEXT) | instid1(VALU_DEP_3)
	v_and_b32_e32 v3, 0x80000000, v3
	v_lshlrev_b32_e32 v119, 20, v40
	s_delay_alu instid0(VALU_DEP_1) | instskip(NEXT) | instid1(VALU_DEP_1)
	v_and_b32_e32 v119, 0x700000, v119
	v_or3_b32 v119, v119, v3, v64
.LBB2_1007:                             ;   in Loop: Header=BB2_799 Depth=2
	s_or_b32 exec_lo, exec_lo, s18
.LBB2_1008:                             ;   in Loop: Header=BB2_799 Depth=2
	s_delay_alu instid0(SALU_CYCLE_1)
	s_or_b32 exec_lo, exec_lo, s17
.LBB2_1009:                             ;   in Loop: Header=BB2_799 Depth=2
	s_delay_alu instid0(SALU_CYCLE_1) | instskip(SKIP_3) | instid1(VALU_DEP_1)
	s_or_b32 exec_lo, exec_lo, s7
	v_lshl_or_b32 v3, v44, 8, v117
	v_dual_lshlrev_b32 v64, 16, v59 :: v_dual_lshlrev_b32 v40, 24, v60
	s_mov_b32 s7, exec_lo
	v_or3_b32 v64, v64, v40, v3
	v_cmpx_ne_u32_e32 0, v117
	s_cbranch_execz .LBB2_1015
; %bb.1010:                             ;   in Loop: Header=BB2_799 Depth=2
	v_bfrev_b32_e32 v118, 1
	s_mov_b32 s17, exec_lo
	v_cmpx_ne_u32_e32 0x80, v117
	s_cbranch_execz .LBB2_1014
; %bb.1011:                             ;   in Loop: Header=BB2_799 Depth=2
	v_and_b32_e32 v40, 0x7f, v117
	v_mov_b32_e32 v118, 0x7f800001
	s_mov_b32 s18, exec_lo
	s_delay_alu instid0(VALU_DEP_2)
	v_cmpx_ne_u32_e32 0x7f, v40
	s_cbranch_execz .LBB2_1013
; %bb.1012:                             ;   in Loop: Header=BB2_799 Depth=2
	v_dual_lshrrev_b32 v118, 3, v40 :: v_dual_bitop2_b32 v117, 7, v117 bitop3:0x40
	v_cmp_gt_u32_e32 vcc_lo, 8, v40
	s_delay_alu instid0(VALU_DEP_2) | instskip(NEXT) | instid1(VALU_DEP_1)
	v_clz_i32_u32_e32 v117, v117
	v_min_u32_e32 v117, 32, v117
	s_delay_alu instid0(VALU_DEP_1) | instskip(SKIP_1) | instid1(VALU_DEP_1)
	v_subrev_nc_u32_e32 v41, 28, v117
	v_sub_nc_u32_e32 v117, 29, v117
	v_cndmask_b32_e32 v117, v118, v117, vcc_lo
	s_delay_alu instid0(VALU_DEP_3) | instskip(NEXT) | instid1(VALU_DEP_1)
	v_cndmask_b32_e32 v118, 0, v41, vcc_lo
	v_lshlrev_b64_e32 v[40:41], v118, v[64:65]
	v_lshlrev_b32_e32 v118, 24, v64
	s_delay_alu instid0(VALU_DEP_1) | instskip(NEXT) | instid1(VALU_DEP_3)
	v_and_b32_e32 v118, 0x80000000, v118
	v_lshlrev_b32_e32 v40, 20, v40
	v_lshl_add_u32 v117, v117, 23, 0x3c000000
	s_delay_alu instid0(VALU_DEP_2) | instskip(NEXT) | instid1(VALU_DEP_1)
	v_and_b32_e32 v40, 0x700000, v40
	v_or3_b32 v118, v40, v118, v117
.LBB2_1013:                             ;   in Loop: Header=BB2_799 Depth=2
	s_or_b32 exec_lo, exec_lo, s18
.LBB2_1014:                             ;   in Loop: Header=BB2_799 Depth=2
	s_delay_alu instid0(SALU_CYCLE_1)
	s_or_b32 exec_lo, exec_lo, s17
.LBB2_1015:                             ;   in Loop: Header=BB2_799 Depth=2
	s_delay_alu instid0(SALU_CYCLE_1) | instskip(NEXT) | instid1(VALU_DEP_1)
	s_or_b32 exec_lo, exec_lo, s7
	v_dual_add_f32 v118, v119, v118 :: v_dual_mov_b32 v41, v65
                                        ; implicit-def: $vgpr117
	s_mov_b32 s7, exec_lo
	s_delay_alu instid0(VALU_DEP_1) | instskip(SKIP_1) | instid1(VALU_DEP_2)
	v_and_b32_e32 v40, 0x7f800000, v118
	v_lshrrev_b32_e32 v119, 24, v118
	v_cmpx_ne_u64_e32 0x7f800000, v[40:41]
	s_xor_b32 s17, exec_lo, s7
	s_cbranch_execz .LBB2_1029
; %bb.1016:                             ;   in Loop: Header=BB2_799 Depth=2
	v_and_b32_e32 v40, 0x7fffffff, v118
	v_mov_b32_e32 v41, v65
	v_and_b32_e32 v44, 0x80, v119
                                        ; implicit-def: $vgpr117
	s_mov_b32 s7, exec_lo
	s_delay_alu instid0(VALU_DEP_2)
	v_cmpx_gt_u64_e32 0x43e00001, v[40:41]
	s_xor_b32 s18, exec_lo, s7
	s_cbranch_execz .LBB2_1026
; %bb.1017:                             ;   in Loop: Header=BB2_799 Depth=2
	v_mov_b32_e32 v117, 0
	s_mov_b32 s19, exec_lo
	v_cmpx_ne_u32_e32 0, v118
	s_cbranch_execz .LBB2_1025
; %bb.1018:                             ;   in Loop: Header=BB2_799 Depth=2
	v_bfe_u32 v117, v118, 23, 8
	v_and_b32_e32 v40, 0x7fffff, v118
	s_mov_b32 s20, exec_lo
	s_delay_alu instid0(VALU_DEP_2) | instskip(NEXT) | instid1(VALU_DEP_2)
	v_cmp_gt_u32_e32 vcc_lo, 0x7a, v117
	v_or_b32_e32 v41, 0x800000, v40
	v_sub_nc_u32_e32 v119, 0x79, v117
	s_delay_alu instid0(VALU_DEP_1) | instskip(SKIP_1) | instid1(VALU_DEP_4)
	v_cndmask_b32_e32 v119, 0, v119, vcc_lo
	v_cmp_eq_u32_e32 vcc_lo, 0, v117
	v_cndmask_b32_e32 v40, v41, v40, vcc_lo
	v_mov_b32_e32 v41, v65
	s_delay_alu instid0(VALU_DEP_4) | instskip(NEXT) | instid1(VALU_DEP_1)
	v_cndmask_b32_e64 v59, v119, 0x78, vcc_lo
	v_dual_add_nc_u32 v118, 20, v59 :: v_dual_add_nc_u32 v60, 19, v59
	s_delay_alu instid0(VALU_DEP_1) | instskip(NEXT) | instid1(VALU_DEP_2)
	v_lshlrev_b64_e64 v[118:119], v118, -1
	v_lshlrev_b64_e64 v[60:61], v60, 1
	s_delay_alu instid0(VALU_DEP_2) | instskip(NEXT) | instid1(VALU_DEP_3)
	v_bfi_b32 v63, v119, 0, 0
	v_bfi_b32 v62, v118, 0, v40
	v_lshrrev_b64 v[118:119], v59, v[40:41]
	s_delay_alu instid0(VALU_DEP_1) | instskip(NEXT) | instid1(VALU_DEP_3)
	v_mov_b64_e32 v[40:41], v[118:119]
	v_cmpx_eq_u64_e64 v[62:63], v[60:61]
; %bb.1019:                             ;   in Loop: Header=BB2_799 Depth=2
	v_bfe_u32 v40, v118, 20, 1
	v_mov_b32_e32 v41, v65
	s_delay_alu instid0(VALU_DEP_1) | instskip(NEXT) | instid1(VALU_DEP_1)
	v_add_nc_u64_e32 v[40:41], v[118:119], v[40:41]
	v_add_nc_u64_e32 v[40:41], -1, v[40:41]
; %bb.1020:                             ;   in Loop: Header=BB2_799 Depth=2
	s_or_b32 exec_lo, exec_lo, s20
	v_add_nc_u32_e32 v117, 0xffffff81, v117
	v_lshrrev_b32_e32 v119, 23, v118
	s_mov_b32 s7, exec_lo
	s_delay_alu instid0(VALU_DEP_2) | instskip(NEXT) | instid1(VALU_DEP_1)
	v_cndmask_b32_e64 v117, v117, 0xffffff82, vcc_lo
	v_add3_u32 v41, v59, v117, v119
	v_and_b32_e32 v117, 0xfffff, v40
	s_delay_alu instid0(VALU_DEP_2) | instskip(NEXT) | instid1(VALU_DEP_2)
	v_dual_mov_b32 v119, v65 :: v_dual_add_nc_u32 v40, 6, v41
	v_add_nc_u32_e32 v118, v117, v118
                                        ; implicit-def: $vgpr117
	s_delay_alu instid0(VALU_DEP_2)
	v_cmpx_ne_u32_e32 0, v40
	s_xor_b32 s7, exec_lo, s7
; %bb.1021:                             ;   in Loop: Header=BB2_799 Depth=2
	s_delay_alu instid0(VALU_DEP_2) | instskip(SKIP_1) | instid1(VALU_DEP_1)
	v_cmp_lt_u64_e32 vcc_lo, 0xffffff, v[118:119]
	v_add_nc_u32_e32 v117, 7, v41
	v_cndmask_b32_e32 v117, v40, v117, vcc_lo
	v_cndmask_b32_e64 v40, 0, 1, vcc_lo
	s_delay_alu instid0(VALU_DEP_1)
	v_lshrrev_b64 v[118:119], v40, v[118:119]
; %bb.1022:                             ;   in Loop: Header=BB2_799 Depth=2
	s_and_not1_saveexec_b32 s7, s7
; %bb.1023:                             ;   in Loop: Header=BB2_799 Depth=2
	s_delay_alu instid0(VALU_DEP_1)
	v_bfe_u32 v117, v118, 23, 1
; %bb.1024:                             ;   in Loop: Header=BB2_799 Depth=2
	s_or_b32 exec_lo, exec_lo, s7
	s_delay_alu instid0(VALU_DEP_2) | instskip(NEXT) | instid1(VALU_DEP_2)
	v_lshrrev_b64 v[118:119], 20, v[118:119]
	v_cmp_gt_i32_e32 vcc_lo, 16, v117
	v_min_i32_e32 v40, 15, v117
	v_cmp_eq_u32_e64 s7, 0, v117
	s_delay_alu instid0(VALU_DEP_2) | instskip(SKIP_1) | instid1(VALU_DEP_2)
	v_dual_cndmask_b32 v119, 0, v119 :: v_dual_lshlrev_b32 v40, 3, v40
	v_cndmask_b32_e32 v118, 7, v118, vcc_lo
	v_and_b32_e32 v40, 0xf8, v40
	s_delay_alu instid0(VALU_DEP_2) | instskip(NEXT) | instid1(VALU_DEP_2)
	v_cmp_eq_u64_e32 vcc_lo, 0, v[118:119]
	v_and_or_b32 v117, v118, 7, v40
	s_and_b32 s7, s7, vcc_lo
	s_delay_alu instid0(VALU_DEP_1) | instid1(SALU_CYCLE_1)
	v_cndmask_b32_e64 v117, v117, 0, s7
	s_delay_alu instid0(VALU_DEP_1)
	v_or_b32_e32 v117, v117, v44
.LBB2_1025:                             ;   in Loop: Header=BB2_799 Depth=2
	s_or_b32 exec_lo, exec_lo, s19
                                        ; implicit-def: $vgpr44
.LBB2_1026:                             ;   in Loop: Header=BB2_799 Depth=2
	s_and_not1_saveexec_b32 s7, s18
; %bb.1027:                             ;   in Loop: Header=BB2_799 Depth=2
	v_or_b32_e32 v117, 0x7e, v44
; %bb.1028:                             ;   in Loop: Header=BB2_799 Depth=2
	s_or_b32 exec_lo, exec_lo, s7
                                        ; implicit-def: $vgpr119
.LBB2_1029:                             ;   in Loop: Header=BB2_799 Depth=2
	s_and_not1_saveexec_b32 s7, s17
; %bb.1030:                             ;   in Loop: Header=BB2_799 Depth=2
	v_or_b32_e32 v117, 0x7f, v119
; %bb.1031:                             ;   in Loop: Header=BB2_799 Depth=2
	s_or_b32 exec_lo, exec_lo, s7
	v_lshrrev_b16 v118, 8, v2
	v_dual_mov_b32 v40, 0 :: v_dual_mov_b32 v41, 0
	s_mov_b32 s7, exec_lo
	s_delay_alu instid0(VALU_DEP_2)
	v_cmpx_ne_u16_e32 0, v118
	s_cbranch_execz .LBB2_1039
; %bb.1032:                             ;   in Loop: Header=BB2_799 Depth=2
	v_bfrev_b32_e32 v41, 1
	s_mov_b32 s17, exec_lo
	v_cmpx_ne_u16_e32 0x80, v118
	s_cbranch_execz .LBB2_1038
; %bb.1033:                             ;   in Loop: Header=BB2_799 Depth=2
	v_and_b32_e32 v118, 0xffff, v118
	v_mov_b32_e32 v41, 0x7f800001
	s_mov_b32 s18, exec_lo
	s_delay_alu instid0(VALU_DEP_2) | instskip(NEXT) | instid1(VALU_DEP_1)
	v_and_b32_e32 v44, 0x7f, v118
	v_cmpx_ne_u32_e32 0x7f, v44
	s_cbranch_execz .LBB2_1037
; %bb.1034:                             ;   in Loop: Header=BB2_799 Depth=2
	v_dual_mov_b32 v119, v65 :: v_dual_bitop2_b32 v118, 7, v118 bitop3:0x40
	v_lshrrev_b32_e32 v41, 3, v44
	s_mov_b32 s19, exec_lo
	v_cmpx_gt_u32_e32 8, v44
; %bb.1035:                             ;   in Loop: Header=BB2_799 Depth=2
	s_delay_alu instid0(VALU_DEP_3) | instskip(NEXT) | instid1(VALU_DEP_1)
	v_clz_i32_u32_e32 v41, v118
	v_min_u32_e32 v41, 32, v41
	s_delay_alu instid0(VALU_DEP_1) | instskip(NEXT) | instid1(VALU_DEP_1)
	v_subrev_nc_u32_e32 v44, 28, v41
	v_lshlrev_b64_e32 v[118:119], v44, v[118:119]
	s_delay_alu instid0(VALU_DEP_1)
	v_dual_sub_nc_u32 v41, 29, v41 :: v_dual_bitop2_b32 v118, 7, v118 bitop3:0x40
; %bb.1036:                             ;   in Loop: Header=BB2_799 Depth=2
	s_or_b32 exec_lo, exec_lo, s19
	v_lshlrev_b32_e32 v119, 16, v2
	s_delay_alu instid0(VALU_DEP_2) | instskip(NEXT) | instid1(VALU_DEP_3)
	v_lshlrev_b32_e32 v118, 20, v118
	v_lshl_add_u32 v41, v41, 23, 0x3c000000
	s_delay_alu instid0(VALU_DEP_3) | instskip(NEXT) | instid1(VALU_DEP_1)
	v_and_b32_e32 v119, 0x80000000, v119
	v_or3_b32 v41, v118, v119, v41
.LBB2_1037:                             ;   in Loop: Header=BB2_799 Depth=2
	s_or_b32 exec_lo, exec_lo, s18
.LBB2_1038:                             ;   in Loop: Header=BB2_799 Depth=2
	s_delay_alu instid0(SALU_CYCLE_1)
	s_or_b32 exec_lo, exec_lo, s17
.LBB2_1039:                             ;   in Loop: Header=BB2_799 Depth=2
	s_delay_alu instid0(SALU_CYCLE_1) | instskip(SKIP_2) | instid1(VALU_DEP_1)
	s_or_b32 exec_lo, exec_lo, s7
	v_lshrrev_b16 v118, 8, v3
	s_mov_b32 s7, exec_lo
	v_cmpx_ne_u16_e32 0, v118
	s_cbranch_execz .LBB2_1047
; %bb.1040:                             ;   in Loop: Header=BB2_799 Depth=2
	v_bfrev_b32_e32 v40, 1
	s_mov_b32 s17, exec_lo
	v_cmpx_ne_u16_e32 0x80, v118
	s_cbranch_execz .LBB2_1046
; %bb.1041:                             ;   in Loop: Header=BB2_799 Depth=2
	v_and_b32_e32 v118, 0xffff, v118
	v_mov_b32_e32 v40, 0x7f800001
	s_mov_b32 s18, exec_lo
	s_delay_alu instid0(VALU_DEP_2) | instskip(NEXT) | instid1(VALU_DEP_1)
	v_and_b32_e32 v44, 0x7f, v118
	v_cmpx_ne_u32_e32 0x7f, v44
	s_cbranch_execz .LBB2_1045
; %bb.1042:                             ;   in Loop: Header=BB2_799 Depth=2
	v_dual_mov_b32 v119, v65 :: v_dual_bitop2_b32 v118, 7, v118 bitop3:0x40
	v_lshrrev_b32_e32 v40, 3, v44
	s_mov_b32 s19, exec_lo
	v_cmpx_gt_u32_e32 8, v44
; %bb.1043:                             ;   in Loop: Header=BB2_799 Depth=2
	s_delay_alu instid0(VALU_DEP_3) | instskip(NEXT) | instid1(VALU_DEP_1)
	v_clz_i32_u32_e32 v40, v118
	v_min_u32_e32 v40, 32, v40
	s_delay_alu instid0(VALU_DEP_1) | instskip(NEXT) | instid1(VALU_DEP_1)
	v_subrev_nc_u32_e32 v44, 28, v40
	v_lshlrev_b64_e32 v[118:119], v44, v[118:119]
	s_delay_alu instid0(VALU_DEP_1)
	v_dual_sub_nc_u32 v40, 29, v40 :: v_dual_bitop2_b32 v118, 7, v118 bitop3:0x40
; %bb.1044:                             ;   in Loop: Header=BB2_799 Depth=2
	s_or_b32 exec_lo, exec_lo, s19
	s_delay_alu instid0(VALU_DEP_1) | instskip(NEXT) | instid1(VALU_DEP_2)
	v_dual_lshlrev_b32 v3, 16, v3 :: v_dual_lshlrev_b32 v118, 20, v118
	v_lshl_add_u32 v119, v40, 23, 0x3c000000
	s_delay_alu instid0(VALU_DEP_2) | instskip(NEXT) | instid1(VALU_DEP_1)
	v_and_b32_e32 v3, 0x80000000, v3
	v_or3_b32 v40, v118, v3, v119
.LBB2_1045:                             ;   in Loop: Header=BB2_799 Depth=2
	s_or_b32 exec_lo, exec_lo, s18
.LBB2_1046:                             ;   in Loop: Header=BB2_799 Depth=2
	s_delay_alu instid0(SALU_CYCLE_1)
	s_or_b32 exec_lo, exec_lo, s17
.LBB2_1047:                             ;   in Loop: Header=BB2_799 Depth=2
	s_delay_alu instid0(SALU_CYCLE_1) | instskip(NEXT) | instid1(VALU_DEP_1)
	s_or_b32 exec_lo, exec_lo, s7
	v_add_f32_e32 v118, v41, v40
	v_mov_b32_e32 v41, v65
                                        ; implicit-def: $vgpr44
	s_mov_b32 s7, exec_lo
	s_delay_alu instid0(VALU_DEP_2) | instskip(SKIP_1) | instid1(VALU_DEP_2)
	v_and_b32_e32 v40, 0x7f800000, v118
	v_lshrrev_b32_e32 v3, 24, v118
	v_cmpx_ne_u64_e32 0x7f800000, v[40:41]
	s_xor_b32 s17, exec_lo, s7
	s_cbranch_execz .LBB2_1061
; %bb.1048:                             ;   in Loop: Header=BB2_799 Depth=2
	v_and_b32_e32 v40, 0x7fffffff, v118
	v_mov_b32_e32 v41, v65
	v_and_b32_e32 v3, 0x80, v3
                                        ; implicit-def: $vgpr44
	s_mov_b32 s7, exec_lo
	s_delay_alu instid0(VALU_DEP_2)
	v_cmpx_gt_u64_e32 0x43e00001, v[40:41]
	s_xor_b32 s18, exec_lo, s7
	s_cbranch_execz .LBB2_1058
; %bb.1049:                             ;   in Loop: Header=BB2_799 Depth=2
	v_mov_b32_e32 v44, 0
	s_mov_b32 s19, exec_lo
	v_cmpx_ne_u32_e32 0, v118
	s_cbranch_execz .LBB2_1057
; %bb.1050:                             ;   in Loop: Header=BB2_799 Depth=2
	v_bfe_u32 v44, v118, 23, 8
	v_and_b32_e32 v40, 0x7fffff, v118
	s_mov_b32 s20, exec_lo
	s_delay_alu instid0(VALU_DEP_2) | instskip(SKIP_1) | instid1(VALU_DEP_3)
	v_sub_nc_u32_e32 v119, 0x79, v44
	v_cmp_gt_u32_e32 vcc_lo, 0x7a, v44
	v_or_b32_e32 v41, 0x800000, v40
	s_delay_alu instid0(VALU_DEP_3) | instskip(SKIP_1) | instid1(VALU_DEP_3)
	v_cndmask_b32_e32 v119, 0, v119, vcc_lo
	v_cmp_eq_u32_e32 vcc_lo, 0, v44
	v_cndmask_b32_e32 v40, v41, v40, vcc_lo
	s_delay_alu instid0(VALU_DEP_3) | instskip(NEXT) | instid1(VALU_DEP_1)
	v_cndmask_b32_e64 v59, v119, 0x78, vcc_lo
	v_dual_mov_b32 v41, v65 :: v_dual_add_nc_u32 v118, 20, v59
	v_add_nc_u32_e32 v60, 19, v59
	s_delay_alu instid0(VALU_DEP_2) | instskip(NEXT) | instid1(VALU_DEP_2)
	v_lshlrev_b64_e64 v[118:119], v118, -1
	v_lshlrev_b64_e64 v[60:61], v60, 1
	s_delay_alu instid0(VALU_DEP_2) | instskip(NEXT) | instid1(VALU_DEP_3)
	v_bfi_b32 v63, v119, 0, 0
	v_bfi_b32 v62, v118, 0, v40
	v_lshrrev_b64 v[118:119], v59, v[40:41]
	s_delay_alu instid0(VALU_DEP_1) | instskip(NEXT) | instid1(VALU_DEP_3)
	v_mov_b64_e32 v[40:41], v[118:119]
	v_cmpx_eq_u64_e64 v[62:63], v[60:61]
; %bb.1051:                             ;   in Loop: Header=BB2_799 Depth=2
	v_bfe_u32 v40, v118, 20, 1
	v_mov_b32_e32 v41, v65
	s_delay_alu instid0(VALU_DEP_1) | instskip(NEXT) | instid1(VALU_DEP_1)
	v_add_nc_u64_e32 v[40:41], v[118:119], v[40:41]
	v_add_nc_u64_e32 v[40:41], -1, v[40:41]
; %bb.1052:                             ;   in Loop: Header=BB2_799 Depth=2
	s_or_b32 exec_lo, exec_lo, s20
	v_add_nc_u32_e32 v119, 0xffffff81, v44
	v_lshrrev_b32_e32 v41, 23, v118
	s_mov_b32 s7, exec_lo
	s_delay_alu instid0(VALU_DEP_2) | instskip(NEXT) | instid1(VALU_DEP_1)
	v_cndmask_b32_e64 v119, v119, 0xffffff82, vcc_lo
	v_add3_u32 v41, v59, v119, v41
	v_and_b32_e32 v119, 0xfffff, v40
                                        ; implicit-def: $vgpr40
	s_delay_alu instid0(VALU_DEP_1) | instskip(SKIP_1) | instid1(VALU_DEP_2)
	v_dual_add_nc_u32 v44, 6, v41 :: v_dual_add_nc_u32 v118, v119, v118
	v_mov_b32_e32 v119, v65
	v_cmpx_ne_u32_e32 0, v44
	s_xor_b32 s7, exec_lo, s7
; %bb.1053:                             ;   in Loop: Header=BB2_799 Depth=2
	s_delay_alu instid0(VALU_DEP_2) | instskip(SKIP_2) | instid1(VALU_DEP_2)
	v_cmp_lt_u64_e32 vcc_lo, 0xffffff, v[118:119]
	v_add_nc_u32_e32 v40, 7, v41
	v_cndmask_b32_e64 v41, 0, 1, vcc_lo
	v_cndmask_b32_e32 v40, v44, v40, vcc_lo
	s_delay_alu instid0(VALU_DEP_2)
	v_lshrrev_b64 v[118:119], v41, v[118:119]
; %bb.1054:                             ;   in Loop: Header=BB2_799 Depth=2
	s_and_not1_saveexec_b32 s7, s7
; %bb.1055:                             ;   in Loop: Header=BB2_799 Depth=2
	s_delay_alu instid0(VALU_DEP_1)
	v_bfe_u32 v40, v118, 23, 1
; %bb.1056:                             ;   in Loop: Header=BB2_799 Depth=2
	s_or_b32 exec_lo, exec_lo, s7
	s_delay_alu instid0(VALU_DEP_2) | instskip(NEXT) | instid1(VALU_DEP_2)
	v_lshrrev_b64 v[118:119], 20, v[118:119]
	v_cmp_gt_i32_e32 vcc_lo, 16, v40
	v_min_i32_e32 v41, 15, v40
	v_cmp_eq_u32_e64 s7, 0, v40
	s_delay_alu instid0(VALU_DEP_2) | instskip(SKIP_1) | instid1(VALU_DEP_2)
	v_dual_cndmask_b32 v119, 0, v119, vcc_lo :: v_dual_lshlrev_b32 v41, 3, v41
	v_cndmask_b32_e32 v118, 7, v118, vcc_lo
	v_and_b32_e32 v41, 0xf8, v41
	s_delay_alu instid0(VALU_DEP_2) | instskip(NEXT) | instid1(VALU_DEP_2)
	v_cmp_eq_u64_e32 vcc_lo, 0, v[118:119]
	v_and_or_b32 v118, v118, 7, v41
	s_and_b32 s7, s7, vcc_lo
	s_delay_alu instid0(VALU_DEP_1) | instid1(SALU_CYCLE_1)
	v_cndmask_b32_e64 v118, v118, 0, s7
	s_delay_alu instid0(VALU_DEP_1)
	v_or_b32_e32 v44, v118, v3
.LBB2_1057:                             ;   in Loop: Header=BB2_799 Depth=2
	s_or_b32 exec_lo, exec_lo, s19
                                        ; implicit-def: $vgpr3
.LBB2_1058:                             ;   in Loop: Header=BB2_799 Depth=2
	s_and_not1_saveexec_b32 s7, s18
; %bb.1059:                             ;   in Loop: Header=BB2_799 Depth=2
	v_or_b32_e32 v44, 0x7e, v3
; %bb.1060:                             ;   in Loop: Header=BB2_799 Depth=2
	s_or_b32 exec_lo, exec_lo, s7
                                        ; implicit-def: $vgpr3
.LBB2_1061:                             ;   in Loop: Header=BB2_799 Depth=2
	s_and_not1_saveexec_b32 s7, s17
; %bb.1062:                             ;   in Loop: Header=BB2_799 Depth=2
	v_or_b32_e32 v44, 0x7f, v3
; %bb.1063:                             ;   in Loop: Header=BB2_799 Depth=2
	s_or_b32 exec_lo, exec_lo, s7
	v_dual_lshrrev_b32 v41, 16, v2 :: v_dual_mov_b32 v3, 0
	v_mov_b32_e32 v40, 0
	s_mov_b32 s7, exec_lo
	s_delay_alu instid0(VALU_DEP_2) | instskip(NEXT) | instid1(VALU_DEP_1)
	v_and_b32_e32 v118, 0xff, v41
	v_cmpx_ne_u16_e32 0, v118
	s_cbranch_execz .LBB2_1071
; %bb.1064:                             ;   in Loop: Header=BB2_799 Depth=2
	v_bfrev_b32_e32 v40, 1
	s_mov_b32 s17, exec_lo
	v_cmpx_ne_u16_e32 0x80, v118
	s_cbranch_execz .LBB2_1070
; %bb.1065:                             ;   in Loop: Header=BB2_799 Depth=2
	v_bfe_u32 v59, v2, 16, 7
	v_mov_b32_e32 v40, 0x7f800001
	s_mov_b32 s18, exec_lo
	s_delay_alu instid0(VALU_DEP_2)
	v_cmpx_ne_u32_e32 0x7f, v59
	s_cbranch_execz .LBB2_1069
; %bb.1066:                             ;   in Loop: Header=BB2_799 Depth=2
	v_dual_mov_b32 v119, v65 :: v_dual_bitop2_b32 v118, 7, v41 bitop3:0x40
	v_lshrrev_b32_e32 v40, 3, v59
	s_mov_b32 s19, exec_lo
	v_cmpx_gt_u32_e32 8, v59
; %bb.1067:                             ;   in Loop: Header=BB2_799 Depth=2
	s_delay_alu instid0(VALU_DEP_3) | instskip(NEXT) | instid1(VALU_DEP_1)
	v_clz_i32_u32_e32 v40, v118
	v_min_u32_e32 v40, 32, v40
	s_delay_alu instid0(VALU_DEP_1) | instskip(NEXT) | instid1(VALU_DEP_1)
	v_subrev_nc_u32_e32 v59, 28, v40
	v_lshlrev_b64_e32 v[118:119], v59, v[118:119]
	s_delay_alu instid0(VALU_DEP_1)
	v_dual_sub_nc_u32 v40, 29, v40 :: v_dual_bitop2_b32 v118, 7, v118 bitop3:0x40
; %bb.1068:                             ;   in Loop: Header=BB2_799 Depth=2
	s_or_b32 exec_lo, exec_lo, s19
	s_delay_alu instid0(VALU_DEP_1) | instskip(NEXT) | instid1(VALU_DEP_2)
	v_dual_lshlrev_b32 v119, 24, v41 :: v_dual_lshlrev_b32 v118, 20, v118
	v_lshl_add_u32 v40, v40, 23, 0x3c000000
	s_delay_alu instid0(VALU_DEP_2) | instskip(NEXT) | instid1(VALU_DEP_1)
	v_and_b32_e32 v119, 0x80000000, v119
	v_or3_b32 v40, v118, v119, v40
.LBB2_1069:                             ;   in Loop: Header=BB2_799 Depth=2
	s_or_b32 exec_lo, exec_lo, s18
.LBB2_1070:                             ;   in Loop: Header=BB2_799 Depth=2
	s_delay_alu instid0(SALU_CYCLE_1)
	s_or_b32 exec_lo, exec_lo, s17
.LBB2_1071:                             ;   in Loop: Header=BB2_799 Depth=2
	s_delay_alu instid0(SALU_CYCLE_1) | instskip(SKIP_2) | instid1(VALU_DEP_1)
	s_or_b32 exec_lo, exec_lo, s7
	v_lshrrev_b32_e32 v118, 16, v64
	s_mov_b32 s7, exec_lo
	v_and_b32_e32 v119, 0xff, v118
	s_delay_alu instid0(VALU_DEP_1)
	v_cmpx_ne_u16_e32 0, v119
	s_cbranch_execz .LBB2_1079
; %bb.1072:                             ;   in Loop: Header=BB2_799 Depth=2
	v_bfrev_b32_e32 v3, 1
	s_mov_b32 s17, exec_lo
	v_cmpx_ne_u16_e32 0x80, v119
	s_cbranch_execz .LBB2_1078
; %bb.1073:                             ;   in Loop: Header=BB2_799 Depth=2
	v_bfe_u32 v41, v64, 16, 7
	v_mov_b32_e32 v3, 0x7f800001
	s_mov_b32 s18, exec_lo
	s_delay_alu instid0(VALU_DEP_2)
	v_cmpx_ne_u32_e32 0x7f, v41
	s_cbranch_execz .LBB2_1077
; %bb.1074:                             ;   in Loop: Header=BB2_799 Depth=2
	v_dual_mov_b32 v119, v65 :: v_dual_bitop2_b32 v118, 7, v118 bitop3:0x40
	v_lshrrev_b32_e32 v3, 3, v41
	s_mov_b32 s19, exec_lo
	v_cmpx_gt_u32_e32 8, v41
; %bb.1075:                             ;   in Loop: Header=BB2_799 Depth=2
	s_delay_alu instid0(VALU_DEP_3) | instskip(NEXT) | instid1(VALU_DEP_1)
	v_clz_i32_u32_e32 v3, v118
	v_min_u32_e32 v3, 32, v3
	s_delay_alu instid0(VALU_DEP_1) | instskip(NEXT) | instid1(VALU_DEP_1)
	v_subrev_nc_u32_e32 v41, 28, v3
	v_lshlrev_b64_e32 v[118:119], v41, v[118:119]
	s_delay_alu instid0(VALU_DEP_1)
	v_dual_sub_nc_u32 v3, 29, v3 :: v_dual_bitop2_b32 v118, 7, v118 bitop3:0x40
; %bb.1076:                             ;   in Loop: Header=BB2_799 Depth=2
	s_or_b32 exec_lo, exec_lo, s19
	s_delay_alu instid0(VALU_DEP_1) | instskip(NEXT) | instid1(VALU_DEP_2)
	v_dual_lshlrev_b32 v119, 8, v64 :: v_dual_lshlrev_b32 v118, 20, v118
	v_lshl_add_u32 v3, v3, 23, 0x3c000000
	s_delay_alu instid0(VALU_DEP_2) | instskip(NEXT) | instid1(VALU_DEP_1)
	v_and_b32_e32 v119, 0x80000000, v119
	v_or3_b32 v3, v118, v119, v3
.LBB2_1077:                             ;   in Loop: Header=BB2_799 Depth=2
	s_or_b32 exec_lo, exec_lo, s18
.LBB2_1078:                             ;   in Loop: Header=BB2_799 Depth=2
	s_delay_alu instid0(SALU_CYCLE_1)
	s_or_b32 exec_lo, exec_lo, s17
.LBB2_1079:                             ;   in Loop: Header=BB2_799 Depth=2
	s_delay_alu instid0(SALU_CYCLE_1) | instskip(NEXT) | instid1(VALU_DEP_1)
	s_or_b32 exec_lo, exec_lo, s7
	v_dual_add_f32 v118, v40, v3 :: v_dual_mov_b32 v41, v65
	s_delay_alu instid0(VALU_DEP_1) | instskip(SKIP_1) | instid1(VALU_DEP_2)
	v_and_b32_e32 v40, 0x7f800000, v118
	v_lshrrev_b32_e32 v3, 24, v118
	v_cmp_ne_u64_e32 vcc_lo, 0x7f800000, v[40:41]
                                        ; implicit-def: $vgpr40
	s_and_saveexec_b32 s7, vcc_lo
	s_delay_alu instid0(SALU_CYCLE_1)
	s_xor_b32 s17, exec_lo, s7
	s_cbranch_execz .LBB2_1093
; %bb.1080:                             ;   in Loop: Header=BB2_799 Depth=2
	v_and_b32_e32 v40, 0x7fffffff, v118
	v_mov_b32_e32 v41, v65
	v_and_b32_e32 v3, 0x80, v3
	s_delay_alu instid0(VALU_DEP_2) | instskip(SKIP_1) | instid1(SALU_CYCLE_1)
	v_cmp_gt_u64_e32 vcc_lo, 0x43e00001, v[40:41]
                                        ; implicit-def: $vgpr40
	s_and_saveexec_b32 s7, vcc_lo
	s_xor_b32 s18, exec_lo, s7
	s_cbranch_execz .LBB2_1090
; %bb.1081:                             ;   in Loop: Header=BB2_799 Depth=2
	v_mov_b32_e32 v40, 0
	s_mov_b32 s19, exec_lo
	v_cmpx_ne_u32_e32 0, v118
	s_cbranch_execz .LBB2_1089
; %bb.1082:                             ;   in Loop: Header=BB2_799 Depth=2
	v_bfe_u32 v59, v118, 23, 8
	v_and_b32_e32 v40, 0x7fffff, v118
	s_mov_b32 s20, exec_lo
	s_delay_alu instid0(VALU_DEP_2) | instskip(NEXT) | instid1(VALU_DEP_2)
	v_cmp_gt_u32_e32 vcc_lo, 0x7a, v59
	v_or_b32_e32 v41, 0x800000, v40
	v_sub_nc_u32_e32 v119, 0x79, v59
	s_delay_alu instid0(VALU_DEP_1) | instskip(SKIP_1) | instid1(VALU_DEP_2)
	v_cndmask_b32_e32 v119, 0, v119, vcc_lo
	v_cmp_eq_u32_e32 vcc_lo, 0, v59
	v_cndmask_b32_e64 v60, v119, 0x78, vcc_lo
	v_cndmask_b32_e32 v40, v41, v40, vcc_lo
	s_delay_alu instid0(VALU_DEP_2) | instskip(SKIP_1) | instid1(VALU_DEP_2)
	v_dual_mov_b32 v41, v65 :: v_dual_add_nc_u32 v61, 19, v60
	v_add_nc_u32_e32 v118, 20, v60
	v_lshlrev_b64_e64 v[62:63], v61, 1
	s_delay_alu instid0(VALU_DEP_2) | instskip(NEXT) | instid1(VALU_DEP_1)
	v_lshlrev_b64_e64 v[118:119], v118, -1
	v_bfi_b32 v73, v119, 0, 0
	s_delay_alu instid0(VALU_DEP_2) | instskip(SKIP_1) | instid1(VALU_DEP_1)
	v_bfi_b32 v72, v118, 0, v40
	v_lshrrev_b64 v[118:119], v60, v[40:41]
	v_mov_b64_e32 v[40:41], v[118:119]
	s_delay_alu instid0(VALU_DEP_3)
	v_cmpx_eq_u64_e64 v[72:73], v[62:63]
; %bb.1083:                             ;   in Loop: Header=BB2_799 Depth=2
	v_bfe_u32 v40, v118, 20, 1
	v_mov_b32_e32 v41, v65
	s_delay_alu instid0(VALU_DEP_1) | instskip(NEXT) | instid1(VALU_DEP_1)
	v_add_nc_u64_e32 v[40:41], v[118:119], v[40:41]
	v_add_nc_u64_e32 v[40:41], -1, v[40:41]
; %bb.1084:                             ;   in Loop: Header=BB2_799 Depth=2
	s_or_b32 exec_lo, exec_lo, s20
	v_add_nc_u32_e32 v119, 0xffffff81, v59
	v_lshrrev_b32_e32 v41, 23, v118
	s_mov_b32 s7, exec_lo
	s_delay_alu instid0(VALU_DEP_2) | instskip(NEXT) | instid1(VALU_DEP_1)
	v_cndmask_b32_e64 v119, v119, 0xffffff82, vcc_lo
	v_add3_u32 v41, v60, v119, v41
	v_and_b32_e32 v119, 0xfffff, v40
                                        ; implicit-def: $vgpr40
	s_delay_alu instid0(VALU_DEP_1) | instskip(SKIP_1) | instid1(VALU_DEP_2)
	v_dual_add_nc_u32 v59, 6, v41 :: v_dual_add_nc_u32 v118, v119, v118
	v_mov_b32_e32 v119, v65
	v_cmpx_ne_u32_e32 0, v59
	s_xor_b32 s7, exec_lo, s7
; %bb.1085:                             ;   in Loop: Header=BB2_799 Depth=2
	s_delay_alu instid0(VALU_DEP_2) | instskip(SKIP_2) | instid1(VALU_DEP_2)
	v_cmp_lt_u64_e32 vcc_lo, 0xffffff, v[118:119]
	v_add_nc_u32_e32 v40, 7, v41
	v_cndmask_b32_e64 v41, 0, 1, vcc_lo
	v_cndmask_b32_e32 v40, v59, v40, vcc_lo
	s_delay_alu instid0(VALU_DEP_2)
	v_lshrrev_b64 v[118:119], v41, v[118:119]
; %bb.1086:                             ;   in Loop: Header=BB2_799 Depth=2
	s_and_not1_saveexec_b32 s7, s7
; %bb.1087:                             ;   in Loop: Header=BB2_799 Depth=2
	s_delay_alu instid0(VALU_DEP_1)
	v_bfe_u32 v40, v118, 23, 1
; %bb.1088:                             ;   in Loop: Header=BB2_799 Depth=2
	s_or_b32 exec_lo, exec_lo, s7
	s_delay_alu instid0(VALU_DEP_2) | instskip(NEXT) | instid1(VALU_DEP_2)
	v_lshrrev_b64 v[118:119], 20, v[118:119]
	v_cmp_gt_i32_e32 vcc_lo, 16, v40
	v_min_i32_e32 v41, 15, v40
	v_cmp_eq_u32_e64 s7, 0, v40
	s_delay_alu instid0(VALU_DEP_2) | instskip(SKIP_1) | instid1(VALU_DEP_2)
	v_dual_cndmask_b32 v119, 0, v119, vcc_lo :: v_dual_lshlrev_b32 v41, 3, v41
	v_cndmask_b32_e32 v118, 7, v118, vcc_lo
	v_and_b32_e32 v41, 0xf8, v41
	s_delay_alu instid0(VALU_DEP_2) | instskip(NEXT) | instid1(VALU_DEP_2)
	v_cmp_eq_u64_e32 vcc_lo, 0, v[118:119]
	v_and_or_b32 v118, v118, 7, v41
	s_and_b32 s7, s7, vcc_lo
	s_delay_alu instid0(VALU_DEP_1) | instid1(SALU_CYCLE_1)
	v_cndmask_b32_e64 v118, v118, 0, s7
	s_delay_alu instid0(VALU_DEP_1)
	v_or_b32_e32 v40, v118, v3
.LBB2_1089:                             ;   in Loop: Header=BB2_799 Depth=2
	s_or_b32 exec_lo, exec_lo, s19
                                        ; implicit-def: $vgpr3
.LBB2_1090:                             ;   in Loop: Header=BB2_799 Depth=2
	s_and_not1_saveexec_b32 s7, s18
; %bb.1091:                             ;   in Loop: Header=BB2_799 Depth=2
	v_or_b32_e32 v40, 0x7e, v3
; %bb.1092:                             ;   in Loop: Header=BB2_799 Depth=2
	s_or_b32 exec_lo, exec_lo, s7
                                        ; implicit-def: $vgpr3
.LBB2_1093:                             ;   in Loop: Header=BB2_799 Depth=2
	s_and_not1_saveexec_b32 s7, s17
; %bb.1094:                             ;   in Loop: Header=BB2_799 Depth=2
	v_or_b32_e32 v40, 0x7f, v3
; %bb.1095:                             ;   in Loop: Header=BB2_799 Depth=2
	s_or_b32 exec_lo, exec_lo, s7
	v_dual_mov_b32 v118, 0 :: v_dual_mov_b32 v3, 0
	s_mov_b32 s7, exec_lo
	v_cmpx_lt_u32_e32 0xffffff, v2
	s_cbranch_execz .LBB2_1103
; %bb.1096:                             ;   in Loop: Header=BB2_799 Depth=2
	v_lshrrev_b32_e32 v119, 24, v2
	v_bfrev_b32_e32 v3, 1
	s_mov_b32 s17, exec_lo
	s_delay_alu instid0(VALU_DEP_2)
	v_cmpx_ne_u32_e32 0x80, v119
	s_cbranch_execz .LBB2_1102
; %bb.1097:                             ;   in Loop: Header=BB2_799 Depth=2
	v_bfe_u32 v59, v2, 24, 7
	v_mov_b32_e32 v3, 0x7f800001
	s_mov_b32 s18, exec_lo
	s_delay_alu instid0(VALU_DEP_2)
	v_cmpx_ne_u32_e32 0x7f, v59
	s_cbranch_execz .LBB2_1101
; %bb.1098:                             ;   in Loop: Header=BB2_799 Depth=2
	v_dual_mov_b32 v3, v65 :: v_dual_bitop2_b32 v2, 7, v119 bitop3:0x40
	v_lshrrev_b32_e32 v41, 3, v59
	s_mov_b32 s19, exec_lo
	v_cmpx_gt_u32_e32 8, v59
; %bb.1099:                             ;   in Loop: Header=BB2_799 Depth=2
	s_delay_alu instid0(VALU_DEP_3) | instskip(NEXT) | instid1(VALU_DEP_1)
	v_clz_i32_u32_e32 v41, v2
	v_min_u32_e32 v41, 32, v41
	s_delay_alu instid0(VALU_DEP_1) | instskip(NEXT) | instid1(VALU_DEP_1)
	v_subrev_nc_u32_e32 v59, 28, v41
	v_lshlrev_b64_e32 v[2:3], v59, v[2:3]
	s_delay_alu instid0(VALU_DEP_1)
	v_dual_sub_nc_u32 v41, 29, v41 :: v_dual_bitop2_b32 v2, 7, v2 bitop3:0x40
; %bb.1100:                             ;   in Loop: Header=BB2_799 Depth=2
	s_or_b32 exec_lo, exec_lo, s19
	s_delay_alu instid0(VALU_DEP_1) | instskip(NEXT) | instid1(VALU_DEP_2)
	v_dual_lshlrev_b32 v3, 24, v119 :: v_dual_lshlrev_b32 v2, 20, v2
	v_lshl_add_u32 v119, v41, 23, 0x3c000000
	s_delay_alu instid0(VALU_DEP_2) | instskip(NEXT) | instid1(VALU_DEP_1)
	v_and_b32_e32 v3, 0x80000000, v3
	v_or3_b32 v3, v2, v3, v119
.LBB2_1101:                             ;   in Loop: Header=BB2_799 Depth=2
	s_or_b32 exec_lo, exec_lo, s18
.LBB2_1102:                             ;   in Loop: Header=BB2_799 Depth=2
	s_delay_alu instid0(SALU_CYCLE_1)
	s_or_b32 exec_lo, exec_lo, s17
.LBB2_1103:                             ;   in Loop: Header=BB2_799 Depth=2
	s_delay_alu instid0(SALU_CYCLE_1) | instskip(NEXT) | instid1(SALU_CYCLE_1)
	s_or_b32 exec_lo, exec_lo, s7
	s_mov_b32 s7, exec_lo
	v_cmpx_lt_u32_e32 0xffffff, v64
	s_cbranch_execz .LBB2_1111
; %bb.1104:                             ;   in Loop: Header=BB2_799 Depth=2
	v_lshrrev_b32_e32 v2, 24, v64
	v_bfrev_b32_e32 v118, 1
	s_mov_b32 s17, exec_lo
	s_delay_alu instid0(VALU_DEP_2)
	v_cmpx_ne_u32_e32 0x80, v2
	s_cbranch_execz .LBB2_1110
; %bb.1105:                             ;   in Loop: Header=BB2_799 Depth=2
	v_bfe_u32 v119, v64, 24, 7
	v_mov_b32_e32 v118, 0x7f800001
	s_mov_b32 s18, exec_lo
	s_delay_alu instid0(VALU_DEP_2)
	v_cmpx_ne_u32_e32 0x7f, v119
	s_cbranch_execz .LBB2_1109
; %bb.1106:                             ;   in Loop: Header=BB2_799 Depth=2
	v_dual_lshrrev_b32 v118, 3, v119 :: v_dual_bitop2_b32 v64, 7, v2 bitop3:0x40
	s_mov_b32 s19, exec_lo
	v_cmpx_gt_u32_e32 8, v119
; %bb.1107:                             ;   in Loop: Header=BB2_799 Depth=2
	s_delay_alu instid0(VALU_DEP_2) | instskip(NEXT) | instid1(VALU_DEP_1)
	v_clz_i32_u32_e32 v118, v64
	v_min_u32_e32 v118, 32, v118
	s_delay_alu instid0(VALU_DEP_1) | instskip(NEXT) | instid1(VALU_DEP_1)
	v_subrev_nc_u32_e32 v119, 28, v118
	v_lshlrev_b64_e32 v[60:61], v119, v[64:65]
	s_delay_alu instid0(VALU_DEP_1)
	v_dual_sub_nc_u32 v118, 29, v118 :: v_dual_bitop2_b32 v64, 7, v60 bitop3:0x40
; %bb.1108:                             ;   in Loop: Header=BB2_799 Depth=2
	s_or_b32 exec_lo, exec_lo, s19
	s_delay_alu instid0(VALU_DEP_1) | instskip(NEXT) | instid1(VALU_DEP_2)
	v_dual_lshlrev_b32 v2, 24, v2 :: v_dual_lshlrev_b32 v64, 20, v64
	v_lshl_add_u32 v118, v118, 23, 0x3c000000
	s_delay_alu instid0(VALU_DEP_2) | instskip(NEXT) | instid1(VALU_DEP_1)
	v_and_b32_e32 v2, 0x80000000, v2
	v_or3_b32 v118, v64, v2, v118
.LBB2_1109:                             ;   in Loop: Header=BB2_799 Depth=2
	s_or_b32 exec_lo, exec_lo, s18
.LBB2_1110:                             ;   in Loop: Header=BB2_799 Depth=2
	s_delay_alu instid0(SALU_CYCLE_1)
	s_or_b32 exec_lo, exec_lo, s17
.LBB2_1111:                             ;   in Loop: Header=BB2_799 Depth=2
	s_delay_alu instid0(SALU_CYCLE_1) | instskip(NEXT) | instid1(VALU_DEP_1)
	s_or_b32 exec_lo, exec_lo, s7
	v_add_f32_e32 v2, v3, v118
                                        ; implicit-def: $vgpr41
	s_mov_b32 s7, exec_lo
	s_delay_alu instid0(VALU_DEP_1) | instskip(SKIP_1) | instid1(VALU_DEP_2)
	v_and_b32_e32 v64, 0x7f800000, v2
	v_lshrrev_b32_e32 v3, 24, v2
	v_cmpx_ne_u64_e32 0x7f800000, v[64:65]
	s_xor_b32 s17, exec_lo, s7
	s_cbranch_execz .LBB2_1125
; %bb.1112:                             ;   in Loop: Header=BB2_799 Depth=2
	v_and_b32_e32 v64, 0x7fffffff, v2
	v_and_b32_e32 v59, 0x80, v3
                                        ; implicit-def: $vgpr41
	s_mov_b32 s7, exec_lo
	s_delay_alu instid0(VALU_DEP_2)
	v_cmpx_gt_u64_e32 0x43e00001, v[64:65]
	s_xor_b32 s18, exec_lo, s7
	s_cbranch_execz .LBB2_1122
; %bb.1113:                             ;   in Loop: Header=BB2_799 Depth=2
	v_mov_b32_e32 v41, 0
	s_mov_b32 s19, exec_lo
	v_cmpx_ne_u32_e32 0, v2
	s_cbranch_execz .LBB2_1121
; %bb.1114:                             ;   in Loop: Header=BB2_799 Depth=2
	v_bfe_u32 v41, v2, 23, 8
	v_and_b32_e32 v64, 0x7fffff, v2
	s_delay_alu instid0(VALU_DEP_2) | instskip(NEXT) | instid1(VALU_DEP_2)
	v_cmp_gt_u32_e32 vcc_lo, 0x7a, v41
	v_or_b32_e32 v118, 0x800000, v64
	v_sub_nc_u32_e32 v3, 0x79, v41
	s_delay_alu instid0(VALU_DEP_1) | instskip(SKIP_1) | instid1(VALU_DEP_2)
	v_cndmask_b32_e32 v3, 0, v3, vcc_lo
	v_cmp_eq_u32_e32 vcc_lo, 0, v41
	v_cndmask_b32_e64 v60, v3, 0x78, vcc_lo
	v_cndmask_b32_e32 v64, v118, v64, vcc_lo
	s_delay_alu instid0(VALU_DEP_2) | instskip(NEXT) | instid1(VALU_DEP_1)
	v_dual_add_nc_u32 v2, 20, v60 :: v_dual_add_nc_u32 v119, 19, v60
	v_lshlrev_b64_e64 v[2:3], v2, -1
	s_delay_alu instid0(VALU_DEP_2) | instskip(NEXT) | instid1(VALU_DEP_2)
	v_lshlrev_b64_e64 v[118:119], v119, 1
	v_bfi_b32 v63, v3, 0, 0
	s_delay_alu instid0(VALU_DEP_3) | instskip(SKIP_1) | instid1(VALU_DEP_2)
	v_bfi_b32 v62, v2, 0, v64
	v_lshrrev_b64 v[2:3], v60, v[64:65]
	v_cmp_eq_u64_e64 s7, v[62:63], v[118:119]
	s_delay_alu instid0(VALU_DEP_2)
	v_mov_b64_e32 v[118:119], v[2:3]
	s_and_saveexec_b32 s20, s7
; %bb.1115:                             ;   in Loop: Header=BB2_799 Depth=2
	v_bfe_u32 v64, v2, 20, 1
	s_delay_alu instid0(VALU_DEP_1) | instskip(NEXT) | instid1(VALU_DEP_1)
	v_add_nc_u64_e32 v[118:119], v[2:3], v[64:65]
	v_add_nc_u64_e32 v[118:119], -1, v[118:119]
; %bb.1116:                             ;   in Loop: Header=BB2_799 Depth=2
	s_or_b32 exec_lo, exec_lo, s20
	v_add_nc_u32_e32 v3, 0xffffff81, v41
	v_lshrrev_b32_e32 v64, 23, v2
	s_mov_b32 s7, exec_lo
	s_delay_alu instid0(VALU_DEP_2) | instskip(NEXT) | instid1(VALU_DEP_1)
	v_cndmask_b32_e64 v3, v3, 0xffffff82, vcc_lo
	v_add3_u32 v119, v60, v3, v64
	v_and_b32_e32 v3, 0xfffff, v118
                                        ; implicit-def: $vgpr118
	s_delay_alu instid0(VALU_DEP_1) | instskip(NEXT) | instid1(VALU_DEP_1)
	v_dual_add_nc_u32 v41, 6, v119 :: v_dual_add_nc_u32 v64, v3, v2
                                        ; implicit-def: $vgpr2_vgpr3
	v_cmpx_ne_u32_e32 0, v41
	s_xor_b32 s7, exec_lo, s7
; %bb.1117:                             ;   in Loop: Header=BB2_799 Depth=2
	s_delay_alu instid0(VALU_DEP_2) | instskip(SKIP_1) | instid1(VALU_DEP_1)
	v_cmp_lt_u64_e32 vcc_lo, 0xffffff, v[64:65]
	v_add_nc_u32_e32 v2, 7, v119
	v_cndmask_b32_e32 v118, v41, v2, vcc_lo
	v_cndmask_b32_e64 v2, 0, 1, vcc_lo
	s_delay_alu instid0(VALU_DEP_1)
	v_lshrrev_b64 v[2:3], v2, v[64:65]
; %bb.1118:                             ;   in Loop: Header=BB2_799 Depth=2
	s_and_not1_saveexec_b32 s7, s7
; %bb.1119:                             ;   in Loop: Header=BB2_799 Depth=2
	v_mov_b64_e32 v[2:3], v[64:65]
	v_bfe_u32 v118, v64, 23, 1
; %bb.1120:                             ;   in Loop: Header=BB2_799 Depth=2
	s_or_b32 exec_lo, exec_lo, s7
	s_delay_alu instid0(VALU_DEP_2) | instskip(NEXT) | instid1(VALU_DEP_2)
	v_lshrrev_b64 v[2:3], 20, v[2:3]
	v_cmp_gt_i32_e32 vcc_lo, 16, v118
	v_min_i32_e32 v64, 15, v118
	v_cmp_eq_u32_e64 s7, 0, v118
	s_delay_alu instid0(VALU_DEP_2) | instskip(SKIP_1) | instid1(VALU_DEP_2)
	v_dual_cndmask_b32 v3, 0, v3 :: v_dual_lshlrev_b32 v64, 3, v64
	v_cndmask_b32_e32 v2, 7, v2, vcc_lo
	v_and_b32_e32 v64, 0xf8, v64
	s_delay_alu instid0(VALU_DEP_2) | instskip(NEXT) | instid1(VALU_DEP_2)
	v_cmp_eq_u64_e32 vcc_lo, 0, v[2:3]
	v_and_or_b32 v2, v2, 7, v64
	s_and_b32 s7, s7, vcc_lo
	s_delay_alu instid0(VALU_DEP_1) | instid1(SALU_CYCLE_1)
	v_cndmask_b32_e64 v2, v2, 0, s7
	s_delay_alu instid0(VALU_DEP_1)
	v_or_b32_e32 v41, v2, v59
.LBB2_1121:                             ;   in Loop: Header=BB2_799 Depth=2
	s_or_b32 exec_lo, exec_lo, s19
                                        ; implicit-def: $vgpr59
.LBB2_1122:                             ;   in Loop: Header=BB2_799 Depth=2
	s_and_not1_saveexec_b32 s7, s18
; %bb.1123:                             ;   in Loop: Header=BB2_799 Depth=2
	v_or_b32_e32 v41, 0x7e, v59
; %bb.1124:                             ;   in Loop: Header=BB2_799 Depth=2
	s_or_b32 exec_lo, exec_lo, s7
                                        ; implicit-def: $vgpr3
.LBB2_1125:                             ;   in Loop: Header=BB2_799 Depth=2
	s_and_not1_saveexec_b32 s7, s17
; %bb.1126:                             ;   in Loop: Header=BB2_799 Depth=2
	v_or_b32_e32 v41, 0x7f, v3
; %bb.1127:                             ;   in Loop: Header=BB2_799 Depth=2
	s_or_b32 exec_lo, exec_lo, s7
	v_and_b32_e32 v64, 0xff, v4
	v_dual_mov_b32 v2, 0 :: v_dual_mov_b32 v3, 0
	s_mov_b32 s7, exec_lo
	s_delay_alu instid0(VALU_DEP_2)
	v_cmpx_ne_u16_e32 0, v64
	s_cbranch_execz .LBB2_1133
; %bb.1128:                             ;   in Loop: Header=BB2_799 Depth=2
	v_bfrev_b32_e32 v3, 1
	s_mov_b32 s17, exec_lo
	v_cmpx_ne_u16_e32 0x80, v64
	s_cbranch_execz .LBB2_1132
; %bb.1129:                             ;   in Loop: Header=BB2_799 Depth=2
	v_and_b32_e32 v64, 0x7f, v4
	v_mov_b32_e32 v3, 0x7f800001
	s_mov_b32 s18, exec_lo
	s_delay_alu instid0(VALU_DEP_2)
	v_cmpx_ne_u32_e32 0x7f, v64
	s_cbranch_execz .LBB2_1131
; %bb.1130:                             ;   in Loop: Header=BB2_799 Depth=2
	v_cmp_gt_u32_e32 vcc_lo, 8, v64
	v_and_b32_e32 v3, 7, v4
	s_delay_alu instid0(VALU_DEP_1) | instskip(NEXT) | instid1(VALU_DEP_1)
	v_clz_i32_u32_e32 v3, v3
	v_min_u32_e32 v3, 32, v3
	v_lshrrev_b32_e32 v118, 3, v64
	s_delay_alu instid0(VALU_DEP_2) | instskip(SKIP_1) | instid1(VALU_DEP_2)
	v_subrev_nc_u32_e32 v119, 28, v3
	v_sub_nc_u32_e32 v3, 29, v3
	v_cndmask_b32_e32 v64, 0, v119, vcc_lo
	s_delay_alu instid0(VALU_DEP_2) | instskip(NEXT) | instid1(VALU_DEP_2)
	v_cndmask_b32_e32 v3, v118, v3, vcc_lo
	v_lshlrev_b64_e32 v[118:119], v64, v[4:5]
	v_lshlrev_b32_e32 v5, 24, v4
	s_delay_alu instid0(VALU_DEP_3) | instskip(NEXT) | instid1(VALU_DEP_2)
	v_lshl_add_u32 v3, v3, 23, 0x3c000000
	v_and_b32_e32 v5, 0x80000000, v5
	s_delay_alu instid0(VALU_DEP_4) | instskip(NEXT) | instid1(VALU_DEP_1)
	v_lshlrev_b32_e32 v64, 20, v118
	v_and_b32_e32 v64, 0x700000, v64
	s_delay_alu instid0(VALU_DEP_1)
	v_or3_b32 v3, v64, v5, v3
.LBB2_1131:                             ;   in Loop: Header=BB2_799 Depth=2
	s_or_b32 exec_lo, exec_lo, s18
.LBB2_1132:                             ;   in Loop: Header=BB2_799 Depth=2
	s_delay_alu instid0(SALU_CYCLE_1)
	s_or_b32 exec_lo, exec_lo, s17
.LBB2_1133:                             ;   in Loop: Header=BB2_799 Depth=2
	s_delay_alu instid0(SALU_CYCLE_1) | instskip(SKIP_3) | instid1(VALU_DEP_1)
	s_or_b32 exec_lo, exec_lo, s7
	v_dual_lshlrev_b32 v64, 24, v47 :: v_dual_lshlrev_b32 v118, 16, v46
	v_lshl_or_b32 v5, v45, 8, v43
	s_mov_b32 s7, exec_lo
	v_or3_b32 v64, v118, v64, v5
	v_cmpx_ne_u32_e32 0, v43
	s_cbranch_execz .LBB2_1139
; %bb.1134:                             ;   in Loop: Header=BB2_799 Depth=2
	v_bfrev_b32_e32 v2, 1
	s_mov_b32 s17, exec_lo
	v_cmpx_ne_u32_e32 0x80, v43
	s_cbranch_execz .LBB2_1138
; %bb.1135:                             ;   in Loop: Header=BB2_799 Depth=2
	v_and_b32_e32 v118, 0x7f, v43
	v_mov_b32_e32 v2, 0x7f800001
	s_mov_b32 s18, exec_lo
	s_delay_alu instid0(VALU_DEP_2)
	v_cmpx_ne_u32_e32 0x7f, v118
	s_cbranch_execz .LBB2_1137
; %bb.1136:                             ;   in Loop: Header=BB2_799 Depth=2
	v_dual_lshrrev_b32 v119, 3, v118 :: v_dual_bitop2_b32 v2, 7, v43 bitop3:0x40
	v_cmp_gt_u32_e32 vcc_lo, 8, v118
	s_delay_alu instid0(VALU_DEP_2) | instskip(NEXT) | instid1(VALU_DEP_1)
	v_clz_i32_u32_e32 v2, v2
	v_min_u32_e32 v2, 32, v2
	s_delay_alu instid0(VALU_DEP_1) | instskip(NEXT) | instid1(VALU_DEP_1)
	v_subrev_nc_u32_e32 v43, 28, v2
	v_dual_sub_nc_u32 v2, 29, v2 :: v_dual_cndmask_b32 v118, 0, v43, vcc_lo
	s_delay_alu instid0(VALU_DEP_1) | instskip(NEXT) | instid1(VALU_DEP_2)
	v_cndmask_b32_e32 v2, v119, v2, vcc_lo
	v_lshlrev_b64_e32 v[118:119], v118, v[64:65]
	v_lshlrev_b32_e32 v119, 24, v64
	s_delay_alu instid0(VALU_DEP_3) | instskip(NEXT) | instid1(VALU_DEP_2)
	v_lshl_add_u32 v2, v2, 23, 0x3c000000
	v_and_b32_e32 v119, 0x80000000, v119
	s_delay_alu instid0(VALU_DEP_4) | instskip(NEXT) | instid1(VALU_DEP_1)
	v_lshlrev_b32_e32 v118, 20, v118
	v_and_b32_e32 v118, 0x700000, v118
	s_delay_alu instid0(VALU_DEP_1)
	v_or3_b32 v2, v118, v119, v2
.LBB2_1137:                             ;   in Loop: Header=BB2_799 Depth=2
	s_or_b32 exec_lo, exec_lo, s18
.LBB2_1138:                             ;   in Loop: Header=BB2_799 Depth=2
	s_delay_alu instid0(SALU_CYCLE_1)
	s_or_b32 exec_lo, exec_lo, s17
.LBB2_1139:                             ;   in Loop: Header=BB2_799 Depth=2
	s_delay_alu instid0(SALU_CYCLE_1) | instskip(NEXT) | instid1(VALU_DEP_1)
	s_or_b32 exec_lo, exec_lo, s7
	v_dual_add_f32 v2, v3, v2 :: v_dual_mov_b32 v119, v65
                                        ; implicit-def: $vgpr43
	s_mov_b32 s7, exec_lo
	s_delay_alu instid0(VALU_DEP_1) | instskip(SKIP_1) | instid1(VALU_DEP_2)
	v_and_b32_e32 v118, 0x7f800000, v2
	v_lshrrev_b32_e32 v3, 24, v2
	v_cmpx_ne_u64_e32 0x7f800000, v[118:119]
	s_xor_b32 s17, exec_lo, s7
	s_cbranch_execz .LBB2_1153
; %bb.1140:                             ;   in Loop: Header=BB2_799 Depth=2
	v_and_b32_e32 v118, 0x7fffffff, v2
	v_mov_b32_e32 v119, v65
	v_and_b32_e32 v45, 0x80, v3
                                        ; implicit-def: $vgpr43
	s_mov_b32 s7, exec_lo
	s_delay_alu instid0(VALU_DEP_2)
	v_cmpx_gt_u64_e32 0x43e00001, v[118:119]
	s_xor_b32 s18, exec_lo, s7
	s_cbranch_execz .LBB2_1150
; %bb.1141:                             ;   in Loop: Header=BB2_799 Depth=2
	v_mov_b32_e32 v43, 0
	s_mov_b32 s19, exec_lo
	v_cmpx_ne_u32_e32 0, v2
	s_cbranch_execz .LBB2_1149
; %bb.1142:                             ;   in Loop: Header=BB2_799 Depth=2
	v_bfe_u32 v43, v2, 23, 8
	v_and_b32_e32 v118, 0x7fffff, v2
	s_mov_b32 s20, exec_lo
	s_delay_alu instid0(VALU_DEP_2) | instskip(NEXT) | instid1(VALU_DEP_2)
	v_cmp_gt_u32_e32 vcc_lo, 0x7a, v43
	v_or_b32_e32 v119, 0x800000, v118
	v_sub_nc_u32_e32 v3, 0x79, v43
	s_delay_alu instid0(VALU_DEP_1) | instskip(SKIP_1) | instid1(VALU_DEP_2)
	v_cndmask_b32_e32 v3, 0, v3, vcc_lo
	v_cmp_eq_u32_e32 vcc_lo, 0, v43
	v_cndmask_b32_e64 v46, v3, 0x78, vcc_lo
	v_dual_cndmask_b32 v118, v119, v118 :: v_dual_mov_b32 v119, v65
	s_delay_alu instid0(VALU_DEP_2) | instskip(NEXT) | instid1(VALU_DEP_1)
	v_dual_add_nc_u32 v47, 19, v46 :: v_dual_add_nc_u32 v2, 20, v46
	v_lshlrev_b64_e64 v[60:61], v47, 1
	s_delay_alu instid0(VALU_DEP_2) | instskip(NEXT) | instid1(VALU_DEP_1)
	v_lshlrev_b64_e64 v[2:3], v2, -1
	v_bfi_b32 v63, v3, 0, 0
	s_delay_alu instid0(VALU_DEP_2) | instskip(SKIP_1) | instid1(VALU_DEP_1)
	v_bfi_b32 v62, v2, 0, v118
	v_lshrrev_b64 v[2:3], v46, v[118:119]
	v_mov_b64_e32 v[118:119], v[2:3]
	s_delay_alu instid0(VALU_DEP_3)
	v_cmpx_eq_u64_e64 v[62:63], v[60:61]
; %bb.1143:                             ;   in Loop: Header=BB2_799 Depth=2
	v_bfe_u32 v118, v2, 20, 1
	v_mov_b32_e32 v119, v65
	s_delay_alu instid0(VALU_DEP_1) | instskip(NEXT) | instid1(VALU_DEP_1)
	v_add_nc_u64_e32 v[118:119], v[2:3], v[118:119]
	v_add_nc_u64_e32 v[118:119], -1, v[118:119]
; %bb.1144:                             ;   in Loop: Header=BB2_799 Depth=2
	s_or_b32 exec_lo, exec_lo, s20
	v_add_nc_u32_e32 v3, 0xffffff81, v43
	v_lshrrev_b32_e32 v119, 23, v2
	s_mov_b32 s7, exec_lo
	s_delay_alu instid0(VALU_DEP_2) | instskip(NEXT) | instid1(VALU_DEP_1)
	v_cndmask_b32_e64 v3, v3, 0xffffff82, vcc_lo
	v_add3_u32 v119, v46, v3, v119
	v_and_b32_e32 v3, 0xfffff, v118
                                        ; implicit-def: $vgpr118
	s_delay_alu instid0(VALU_DEP_1) | instskip(SKIP_1) | instid1(VALU_DEP_2)
	v_dual_add_nc_u32 v43, 6, v119 :: v_dual_add_nc_u32 v2, v3, v2
	v_mov_b32_e32 v3, v65
	v_cmpx_ne_u32_e32 0, v43
	s_xor_b32 s7, exec_lo, s7
; %bb.1145:                             ;   in Loop: Header=BB2_799 Depth=2
	s_delay_alu instid0(VALU_DEP_2) | instskip(SKIP_2) | instid1(VALU_DEP_2)
	v_cmp_lt_u64_e32 vcc_lo, 0xffffff, v[2:3]
	v_add_nc_u32_e32 v118, 7, v119
	v_cndmask_b32_e64 v119, 0, 1, vcc_lo
	v_cndmask_b32_e32 v118, v43, v118, vcc_lo
	s_delay_alu instid0(VALU_DEP_2)
	v_lshrrev_b64 v[2:3], v119, v[2:3]
; %bb.1146:                             ;   in Loop: Header=BB2_799 Depth=2
	s_and_not1_saveexec_b32 s7, s7
; %bb.1147:                             ;   in Loop: Header=BB2_799 Depth=2
	s_delay_alu instid0(VALU_DEP_1)
	v_bfe_u32 v118, v2, 23, 1
; %bb.1148:                             ;   in Loop: Header=BB2_799 Depth=2
	s_or_b32 exec_lo, exec_lo, s7
	s_delay_alu instid0(VALU_DEP_2) | instskip(NEXT) | instid1(VALU_DEP_2)
	v_lshrrev_b64 v[2:3], 20, v[2:3]
	v_cmp_gt_i32_e32 vcc_lo, 16, v118
	v_min_i32_e32 v119, 15, v118
	v_cmp_eq_u32_e64 s7, 0, v118
	s_delay_alu instid0(VALU_DEP_4) | instskip(NEXT) | instid1(VALU_DEP_3)
	v_cndmask_b32_e32 v3, 0, v3, vcc_lo
	v_dual_cndmask_b32 v2, 7, v2 :: v_dual_lshlrev_b32 v119, 3, v119
	s_delay_alu instid0(VALU_DEP_1) | instskip(NEXT) | instid1(VALU_DEP_2)
	v_and_b32_e32 v119, 0xf8, v119
	v_cmp_eq_u64_e32 vcc_lo, 0, v[2:3]
	s_delay_alu instid0(VALU_DEP_2)
	v_and_or_b32 v2, v2, 7, v119
	s_and_b32 s7, s7, vcc_lo
	s_delay_alu instid0(VALU_DEP_1) | instid1(SALU_CYCLE_1)
	v_cndmask_b32_e64 v2, v2, 0, s7
	s_delay_alu instid0(VALU_DEP_1)
	v_or_b32_e32 v43, v2, v45
.LBB2_1149:                             ;   in Loop: Header=BB2_799 Depth=2
	s_or_b32 exec_lo, exec_lo, s19
                                        ; implicit-def: $vgpr45
.LBB2_1150:                             ;   in Loop: Header=BB2_799 Depth=2
	s_and_not1_saveexec_b32 s7, s18
; %bb.1151:                             ;   in Loop: Header=BB2_799 Depth=2
	v_or_b32_e32 v43, 0x7e, v45
; %bb.1152:                             ;   in Loop: Header=BB2_799 Depth=2
	s_or_b32 exec_lo, exec_lo, s7
                                        ; implicit-def: $vgpr3
.LBB2_1153:                             ;   in Loop: Header=BB2_799 Depth=2
	s_and_not1_saveexec_b32 s7, s17
; %bb.1154:                             ;   in Loop: Header=BB2_799 Depth=2
	v_or_b32_e32 v43, 0x7f, v3
; %bb.1155:                             ;   in Loop: Header=BB2_799 Depth=2
	s_or_b32 exec_lo, exec_lo, s7
	v_lshrrev_b16 v2, 8, v4
	v_dual_mov_b32 v118, 0 :: v_dual_mov_b32 v119, 0
	s_mov_b32 s7, exec_lo
	s_delay_alu instid0(VALU_DEP_2)
	v_cmpx_ne_u16_e32 0, v2
	s_cbranch_execz .LBB2_1163
; %bb.1156:                             ;   in Loop: Header=BB2_799 Depth=2
	v_bfrev_b32_e32 v119, 1
	s_mov_b32 s17, exec_lo
	v_cmpx_ne_u16_e32 0x80, v2
	s_cbranch_execz .LBB2_1162
; %bb.1157:                             ;   in Loop: Header=BB2_799 Depth=2
	v_and_b32_e32 v2, 0xffff, v2
	v_mov_b32_e32 v119, 0x7f800001
	s_mov_b32 s18, exec_lo
	s_delay_alu instid0(VALU_DEP_2) | instskip(NEXT) | instid1(VALU_DEP_1)
	v_and_b32_e32 v45, 0x7f, v2
	v_cmpx_ne_u32_e32 0x7f, v45
	s_cbranch_execz .LBB2_1161
; %bb.1158:                             ;   in Loop: Header=BB2_799 Depth=2
	v_dual_mov_b32 v3, v65 :: v_dual_bitop2_b32 v2, 7, v2 bitop3:0x40
	v_lshrrev_b32_e32 v119, 3, v45
	s_mov_b32 s19, exec_lo
	v_cmpx_gt_u32_e32 8, v45
; %bb.1159:                             ;   in Loop: Header=BB2_799 Depth=2
	s_delay_alu instid0(VALU_DEP_3) | instskip(NEXT) | instid1(VALU_DEP_1)
	v_clz_i32_u32_e32 v119, v2
	v_min_u32_e32 v119, 32, v119
	s_delay_alu instid0(VALU_DEP_1) | instskip(NEXT) | instid1(VALU_DEP_1)
	v_subrev_nc_u32_e32 v45, 28, v119
	v_lshlrev_b64_e32 v[2:3], v45, v[2:3]
	s_delay_alu instid0(VALU_DEP_1)
	v_dual_sub_nc_u32 v119, 29, v119 :: v_dual_bitop2_b32 v2, 7, v2 bitop3:0x40
; %bb.1160:                             ;   in Loop: Header=BB2_799 Depth=2
	s_or_b32 exec_lo, exec_lo, s19
	s_delay_alu instid0(VALU_DEP_1) | instskip(NEXT) | instid1(VALU_DEP_2)
	v_dual_lshlrev_b32 v3, 16, v4 :: v_dual_lshlrev_b32 v2, 20, v2
	v_lshl_add_u32 v119, v119, 23, 0x3c000000
	s_delay_alu instid0(VALU_DEP_2) | instskip(NEXT) | instid1(VALU_DEP_1)
	v_and_b32_e32 v3, 0x80000000, v3
	v_or3_b32 v119, v2, v3, v119
.LBB2_1161:                             ;   in Loop: Header=BB2_799 Depth=2
	s_or_b32 exec_lo, exec_lo, s18
.LBB2_1162:                             ;   in Loop: Header=BB2_799 Depth=2
	s_delay_alu instid0(SALU_CYCLE_1)
	s_or_b32 exec_lo, exec_lo, s17
.LBB2_1163:                             ;   in Loop: Header=BB2_799 Depth=2
	s_delay_alu instid0(SALU_CYCLE_1) | instskip(SKIP_2) | instid1(VALU_DEP_1)
	s_or_b32 exec_lo, exec_lo, s7
	v_lshrrev_b16 v2, 8, v5
	s_mov_b32 s7, exec_lo
	v_cmpx_ne_u16_e32 0, v2
	s_cbranch_execz .LBB2_1171
; %bb.1164:                             ;   in Loop: Header=BB2_799 Depth=2
	v_bfrev_b32_e32 v118, 1
	s_mov_b32 s17, exec_lo
	v_cmpx_ne_u16_e32 0x80, v2
	s_cbranch_execz .LBB2_1170
; %bb.1165:                             ;   in Loop: Header=BB2_799 Depth=2
	v_and_b32_e32 v2, 0xffff, v2
	v_mov_b32_e32 v118, 0x7f800001
	s_mov_b32 s18, exec_lo
	s_delay_alu instid0(VALU_DEP_2) | instskip(NEXT) | instid1(VALU_DEP_1)
	v_and_b32_e32 v45, 0x7f, v2
	v_cmpx_ne_u32_e32 0x7f, v45
	s_cbranch_execz .LBB2_1169
; %bb.1166:                             ;   in Loop: Header=BB2_799 Depth=2
	v_dual_mov_b32 v3, v65 :: v_dual_bitop2_b32 v2, 7, v2 bitop3:0x40
	v_lshrrev_b32_e32 v118, 3, v45
	s_mov_b32 s19, exec_lo
	v_cmpx_gt_u32_e32 8, v45
; %bb.1167:                             ;   in Loop: Header=BB2_799 Depth=2
	s_delay_alu instid0(VALU_DEP_3) | instskip(NEXT) | instid1(VALU_DEP_1)
	v_clz_i32_u32_e32 v118, v2
	v_min_u32_e32 v118, 32, v118
	s_delay_alu instid0(VALU_DEP_1) | instskip(SKIP_1) | instid1(VALU_DEP_2)
	v_subrev_nc_u32_e32 v45, 28, v118
	v_sub_nc_u32_e32 v118, 29, v118
	v_lshlrev_b64_e32 v[2:3], v45, v[2:3]
	s_delay_alu instid0(VALU_DEP_1)
	v_and_b32_e32 v2, 7, v2
; %bb.1168:                             ;   in Loop: Header=BB2_799 Depth=2
	s_or_b32 exec_lo, exec_lo, s19
	s_delay_alu instid0(VALU_DEP_1) | instskip(SKIP_1) | instid1(VALU_DEP_2)
	v_dual_lshlrev_b32 v3, 16, v5 :: v_dual_lshlrev_b32 v2, 20, v2
	v_lshl_add_u32 v5, v118, 23, 0x3c000000
	v_and_b32_e32 v3, 0x80000000, v3
	s_delay_alu instid0(VALU_DEP_1)
	v_or3_b32 v118, v2, v3, v5
.LBB2_1169:                             ;   in Loop: Header=BB2_799 Depth=2
	s_or_b32 exec_lo, exec_lo, s18
.LBB2_1170:                             ;   in Loop: Header=BB2_799 Depth=2
	s_delay_alu instid0(SALU_CYCLE_1)
	s_or_b32 exec_lo, exec_lo, s17
.LBB2_1171:                             ;   in Loop: Header=BB2_799 Depth=2
	s_delay_alu instid0(SALU_CYCLE_1) | instskip(NEXT) | instid1(VALU_DEP_1)
	s_or_b32 exec_lo, exec_lo, s7
	v_dual_add_f32 v2, v119, v118 :: v_dual_mov_b32 v119, v65
                                        ; implicit-def: $vgpr45
	s_mov_b32 s7, exec_lo
	s_delay_alu instid0(VALU_DEP_1) | instskip(SKIP_1) | instid1(VALU_DEP_2)
	v_and_b32_e32 v118, 0x7f800000, v2
	v_lshrrev_b32_e32 v3, 24, v2
	v_cmpx_ne_u64_e32 0x7f800000, v[118:119]
	s_xor_b32 s17, exec_lo, s7
	s_cbranch_execz .LBB2_1185
; %bb.1172:                             ;   in Loop: Header=BB2_799 Depth=2
	v_and_b32_e32 v118, 0x7fffffff, v2
	v_mov_b32_e32 v119, v65
	v_and_b32_e32 v5, 0x80, v3
                                        ; implicit-def: $vgpr45
	s_mov_b32 s7, exec_lo
	s_delay_alu instid0(VALU_DEP_2)
	v_cmpx_gt_u64_e32 0x43e00001, v[118:119]
	s_xor_b32 s18, exec_lo, s7
	s_cbranch_execz .LBB2_1182
; %bb.1173:                             ;   in Loop: Header=BB2_799 Depth=2
	v_mov_b32_e32 v45, 0
	s_mov_b32 s19, exec_lo
	v_cmpx_ne_u32_e32 0, v2
	s_cbranch_execz .LBB2_1181
; %bb.1174:                             ;   in Loop: Header=BB2_799 Depth=2
	v_bfe_u32 v45, v2, 23, 8
	v_and_b32_e32 v118, 0x7fffff, v2
	s_mov_b32 s20, exec_lo
	s_delay_alu instid0(VALU_DEP_2) | instskip(NEXT) | instid1(VALU_DEP_2)
	v_cmp_gt_u32_e32 vcc_lo, 0x7a, v45
	v_or_b32_e32 v119, 0x800000, v118
	v_sub_nc_u32_e32 v3, 0x79, v45
	s_delay_alu instid0(VALU_DEP_1) | instskip(SKIP_1) | instid1(VALU_DEP_2)
	v_cndmask_b32_e32 v3, 0, v3, vcc_lo
	v_cmp_eq_u32_e32 vcc_lo, 0, v45
	v_cndmask_b32_e64 v46, v3, 0x78, vcc_lo
	v_dual_cndmask_b32 v118, v119, v118 :: v_dual_mov_b32 v119, v65
	s_delay_alu instid0(VALU_DEP_2) | instskip(NEXT) | instid1(VALU_DEP_1)
	v_dual_add_nc_u32 v47, 19, v46 :: v_dual_add_nc_u32 v2, 20, v46
	v_lshlrev_b64_e64 v[60:61], v47, 1
	s_delay_alu instid0(VALU_DEP_2) | instskip(NEXT) | instid1(VALU_DEP_1)
	v_lshlrev_b64_e64 v[2:3], v2, -1
	v_bfi_b32 v63, v3, 0, 0
	s_delay_alu instid0(VALU_DEP_2) | instskip(SKIP_1) | instid1(VALU_DEP_1)
	v_bfi_b32 v62, v2, 0, v118
	v_lshrrev_b64 v[2:3], v46, v[118:119]
	v_mov_b64_e32 v[118:119], v[2:3]
	s_delay_alu instid0(VALU_DEP_3)
	v_cmpx_eq_u64_e64 v[62:63], v[60:61]
; %bb.1175:                             ;   in Loop: Header=BB2_799 Depth=2
	v_bfe_u32 v118, v2, 20, 1
	v_mov_b32_e32 v119, v65
	s_delay_alu instid0(VALU_DEP_1) | instskip(NEXT) | instid1(VALU_DEP_1)
	v_add_nc_u64_e32 v[118:119], v[2:3], v[118:119]
	v_add_nc_u64_e32 v[118:119], -1, v[118:119]
; %bb.1176:                             ;   in Loop: Header=BB2_799 Depth=2
	s_or_b32 exec_lo, exec_lo, s20
	v_add_nc_u32_e32 v3, 0xffffff81, v45
	v_lshrrev_b32_e32 v119, 23, v2
	s_mov_b32 s7, exec_lo
	s_delay_alu instid0(VALU_DEP_2) | instskip(NEXT) | instid1(VALU_DEP_1)
	v_cndmask_b32_e64 v3, v3, 0xffffff82, vcc_lo
	v_add3_u32 v119, v46, v3, v119
	v_and_b32_e32 v3, 0xfffff, v118
                                        ; implicit-def: $vgpr118
	s_delay_alu instid0(VALU_DEP_1) | instskip(SKIP_1) | instid1(VALU_DEP_2)
	v_dual_add_nc_u32 v45, 6, v119 :: v_dual_add_nc_u32 v2, v3, v2
	v_mov_b32_e32 v3, v65
	v_cmpx_ne_u32_e32 0, v45
	s_xor_b32 s7, exec_lo, s7
; %bb.1177:                             ;   in Loop: Header=BB2_799 Depth=2
	s_delay_alu instid0(VALU_DEP_2) | instskip(SKIP_2) | instid1(VALU_DEP_2)
	v_cmp_lt_u64_e32 vcc_lo, 0xffffff, v[2:3]
	v_add_nc_u32_e32 v118, 7, v119
	v_cndmask_b32_e64 v119, 0, 1, vcc_lo
	v_cndmask_b32_e32 v118, v45, v118, vcc_lo
	s_delay_alu instid0(VALU_DEP_2)
	v_lshrrev_b64 v[2:3], v119, v[2:3]
; %bb.1178:                             ;   in Loop: Header=BB2_799 Depth=2
	s_and_not1_saveexec_b32 s7, s7
; %bb.1179:                             ;   in Loop: Header=BB2_799 Depth=2
	s_delay_alu instid0(VALU_DEP_1)
	v_bfe_u32 v118, v2, 23, 1
; %bb.1180:                             ;   in Loop: Header=BB2_799 Depth=2
	s_or_b32 exec_lo, exec_lo, s7
	s_delay_alu instid0(VALU_DEP_2) | instskip(NEXT) | instid1(VALU_DEP_2)
	v_lshrrev_b64 v[2:3], 20, v[2:3]
	v_cmp_gt_i32_e32 vcc_lo, 16, v118
	v_min_i32_e32 v119, 15, v118
	v_cmp_eq_u32_e64 s7, 0, v118
	s_delay_alu instid0(VALU_DEP_4) | instskip(NEXT) | instid1(VALU_DEP_3)
	v_cndmask_b32_e32 v3, 0, v3, vcc_lo
	v_dual_cndmask_b32 v2, 7, v2 :: v_dual_lshlrev_b32 v119, 3, v119
	s_delay_alu instid0(VALU_DEP_1) | instskip(NEXT) | instid1(VALU_DEP_2)
	v_and_b32_e32 v119, 0xf8, v119
	v_cmp_eq_u64_e32 vcc_lo, 0, v[2:3]
	s_delay_alu instid0(VALU_DEP_2)
	v_and_or_b32 v2, v2, 7, v119
	s_and_b32 s7, s7, vcc_lo
	s_delay_alu instid0(VALU_DEP_1) | instid1(SALU_CYCLE_1)
	v_cndmask_b32_e64 v2, v2, 0, s7
	s_delay_alu instid0(VALU_DEP_1)
	v_or_b32_e32 v45, v2, v5
.LBB2_1181:                             ;   in Loop: Header=BB2_799 Depth=2
	s_or_b32 exec_lo, exec_lo, s19
                                        ; implicit-def: $vgpr5
.LBB2_1182:                             ;   in Loop: Header=BB2_799 Depth=2
	s_and_not1_saveexec_b32 s7, s18
; %bb.1183:                             ;   in Loop: Header=BB2_799 Depth=2
	v_or_b32_e32 v45, 0x7e, v5
; %bb.1184:                             ;   in Loop: Header=BB2_799 Depth=2
	s_or_b32 exec_lo, exec_lo, s7
                                        ; implicit-def: $vgpr3
.LBB2_1185:                             ;   in Loop: Header=BB2_799 Depth=2
	s_and_not1_saveexec_b32 s7, s17
; %bb.1186:                             ;   in Loop: Header=BB2_799 Depth=2
	v_or_b32_e32 v45, 0x7f, v3
; %bb.1187:                             ;   in Loop: Header=BB2_799 Depth=2
	s_or_b32 exec_lo, exec_lo, s7
	v_dual_lshrrev_b32 v119, 16, v4 :: v_dual_mov_b32 v5, 0
	v_mov_b32_e32 v118, 0
	s_mov_b32 s7, exec_lo
	s_delay_alu instid0(VALU_DEP_2) | instskip(NEXT) | instid1(VALU_DEP_1)
	v_and_b32_e32 v2, 0xff, v119
	v_cmpx_ne_u16_e32 0, v2
	s_cbranch_execz .LBB2_1195
; %bb.1188:                             ;   in Loop: Header=BB2_799 Depth=2
	v_bfrev_b32_e32 v118, 1
	s_mov_b32 s17, exec_lo
	v_cmpx_ne_u16_e32 0x80, v2
	s_cbranch_execz .LBB2_1194
; %bb.1189:                             ;   in Loop: Header=BB2_799 Depth=2
	v_bfe_u32 v46, v4, 16, 7
	v_mov_b32_e32 v118, 0x7f800001
	s_mov_b32 s18, exec_lo
	s_delay_alu instid0(VALU_DEP_2)
	v_cmpx_ne_u32_e32 0x7f, v46
	s_cbranch_execz .LBB2_1193
; %bb.1190:                             ;   in Loop: Header=BB2_799 Depth=2
	v_dual_mov_b32 v3, v65 :: v_dual_bitop2_b32 v2, 7, v119 bitop3:0x40
	v_lshrrev_b32_e32 v118, 3, v46
	s_mov_b32 s19, exec_lo
	v_cmpx_gt_u32_e32 8, v46
; %bb.1191:                             ;   in Loop: Header=BB2_799 Depth=2
	s_delay_alu instid0(VALU_DEP_3) | instskip(NEXT) | instid1(VALU_DEP_1)
	v_clz_i32_u32_e32 v118, v2
	v_min_u32_e32 v118, 32, v118
	s_delay_alu instid0(VALU_DEP_1) | instskip(SKIP_1) | instid1(VALU_DEP_2)
	v_subrev_nc_u32_e32 v46, 28, v118
	v_sub_nc_u32_e32 v118, 29, v118
	v_lshlrev_b64_e32 v[2:3], v46, v[2:3]
	s_delay_alu instid0(VALU_DEP_1)
	v_and_b32_e32 v2, 7, v2
; %bb.1192:                             ;   in Loop: Header=BB2_799 Depth=2
	s_or_b32 exec_lo, exec_lo, s19
	s_delay_alu instid0(VALU_DEP_1) | instskip(SKIP_1) | instid1(VALU_DEP_2)
	v_dual_lshlrev_b32 v3, 24, v119 :: v_dual_lshlrev_b32 v2, 20, v2
	v_lshl_add_u32 v118, v118, 23, 0x3c000000
	v_and_b32_e32 v3, 0x80000000, v3
	s_delay_alu instid0(VALU_DEP_1)
	v_or3_b32 v118, v2, v3, v118
.LBB2_1193:                             ;   in Loop: Header=BB2_799 Depth=2
	s_or_b32 exec_lo, exec_lo, s18
.LBB2_1194:                             ;   in Loop: Header=BB2_799 Depth=2
	s_delay_alu instid0(SALU_CYCLE_1)
	s_or_b32 exec_lo, exec_lo, s17
.LBB2_1195:                             ;   in Loop: Header=BB2_799 Depth=2
	s_delay_alu instid0(SALU_CYCLE_1) | instskip(SKIP_2) | instid1(VALU_DEP_1)
	s_or_b32 exec_lo, exec_lo, s7
	v_lshrrev_b32_e32 v2, 16, v64
	s_mov_b32 s7, exec_lo
	v_and_b32_e32 v3, 0xff, v2
	s_delay_alu instid0(VALU_DEP_1)
	v_cmpx_ne_u16_e32 0, v3
	s_cbranch_execz .LBB2_1203
; %bb.1196:                             ;   in Loop: Header=BB2_799 Depth=2
	v_bfrev_b32_e32 v5, 1
	s_mov_b32 s17, exec_lo
	v_cmpx_ne_u16_e32 0x80, v3
	s_cbranch_execz .LBB2_1202
; %bb.1197:                             ;   in Loop: Header=BB2_799 Depth=2
	v_bfe_u32 v119, v64, 16, 7
	v_mov_b32_e32 v5, 0x7f800001
	s_mov_b32 s18, exec_lo
	s_delay_alu instid0(VALU_DEP_2)
	v_cmpx_ne_u32_e32 0x7f, v119
	s_cbranch_execz .LBB2_1201
; %bb.1198:                             ;   in Loop: Header=BB2_799 Depth=2
	v_dual_mov_b32 v3, v65 :: v_dual_bitop2_b32 v2, 7, v2 bitop3:0x40
	v_lshrrev_b32_e32 v5, 3, v119
	s_mov_b32 s19, exec_lo
	v_cmpx_gt_u32_e32 8, v119
; %bb.1199:                             ;   in Loop: Header=BB2_799 Depth=2
	s_delay_alu instid0(VALU_DEP_3) | instskip(NEXT) | instid1(VALU_DEP_1)
	v_clz_i32_u32_e32 v5, v2
	v_min_u32_e32 v5, 32, v5
	s_delay_alu instid0(VALU_DEP_1) | instskip(NEXT) | instid1(VALU_DEP_1)
	v_subrev_nc_u32_e32 v119, 28, v5
	v_lshlrev_b64_e32 v[2:3], v119, v[2:3]
	s_delay_alu instid0(VALU_DEP_1)
	v_dual_sub_nc_u32 v5, 29, v5 :: v_dual_bitop2_b32 v2, 7, v2 bitop3:0x40
; %bb.1200:                             ;   in Loop: Header=BB2_799 Depth=2
	s_or_b32 exec_lo, exec_lo, s19
	s_delay_alu instid0(VALU_DEP_1) | instskip(NEXT) | instid1(VALU_DEP_2)
	v_dual_lshlrev_b32 v3, 8, v64 :: v_dual_lshlrev_b32 v2, 20, v2
	v_lshl_add_u32 v5, v5, 23, 0x3c000000
	s_delay_alu instid0(VALU_DEP_2) | instskip(NEXT) | instid1(VALU_DEP_1)
	v_and_b32_e32 v3, 0x80000000, v3
	v_or3_b32 v5, v2, v3, v5
.LBB2_1201:                             ;   in Loop: Header=BB2_799 Depth=2
	s_or_b32 exec_lo, exec_lo, s18
.LBB2_1202:                             ;   in Loop: Header=BB2_799 Depth=2
	s_delay_alu instid0(SALU_CYCLE_1)
	s_or_b32 exec_lo, exec_lo, s17
.LBB2_1203:                             ;   in Loop: Header=BB2_799 Depth=2
	s_delay_alu instid0(SALU_CYCLE_1) | instskip(NEXT) | instid1(VALU_DEP_1)
	s_or_b32 exec_lo, exec_lo, s7
	v_dual_add_f32 v2, v118, v5 :: v_dual_mov_b32 v119, v65
	s_delay_alu instid0(VALU_DEP_1) | instskip(SKIP_1) | instid1(VALU_DEP_2)
	v_and_b32_e32 v118, 0x7f800000, v2
	v_lshrrev_b32_e32 v3, 24, v2
	v_cmp_ne_u64_e32 vcc_lo, 0x7f800000, v[118:119]
                                        ; implicit-def: $vgpr118
	s_and_saveexec_b32 s7, vcc_lo
	s_delay_alu instid0(SALU_CYCLE_1)
	s_xor_b32 s17, exec_lo, s7
	s_cbranch_execz .LBB2_1217
; %bb.1204:                             ;   in Loop: Header=BB2_799 Depth=2
	v_and_b32_e32 v118, 0x7fffffff, v2
	v_mov_b32_e32 v119, v65
	v_and_b32_e32 v5, 0x80, v3
	s_delay_alu instid0(VALU_DEP_2) | instskip(SKIP_1) | instid1(SALU_CYCLE_1)
	v_cmp_gt_u64_e32 vcc_lo, 0x43e00001, v[118:119]
                                        ; implicit-def: $vgpr118
	s_and_saveexec_b32 s7, vcc_lo
	s_xor_b32 s18, exec_lo, s7
	s_cbranch_execz .LBB2_1214
; %bb.1205:                             ;   in Loop: Header=BB2_799 Depth=2
	v_mov_b32_e32 v118, 0
	s_mov_b32 s19, exec_lo
	v_cmpx_ne_u32_e32 0, v2
	s_cbranch_execz .LBB2_1213
; %bb.1206:                             ;   in Loop: Header=BB2_799 Depth=2
	v_bfe_u32 v46, v2, 23, 8
	v_and_b32_e32 v118, 0x7fffff, v2
	s_mov_b32 s20, exec_lo
	s_delay_alu instid0(VALU_DEP_2) | instskip(SKIP_1) | instid1(VALU_DEP_3)
	v_sub_nc_u32_e32 v3, 0x79, v46
	v_cmp_gt_u32_e32 vcc_lo, 0x7a, v46
	v_or_b32_e32 v119, 0x800000, v118
	s_delay_alu instid0(VALU_DEP_3) | instskip(SKIP_1) | instid1(VALU_DEP_3)
	v_cndmask_b32_e32 v3, 0, v3, vcc_lo
	v_cmp_eq_u32_e32 vcc_lo, 0, v46
	v_cndmask_b32_e32 v118, v119, v118, vcc_lo
	s_delay_alu instid0(VALU_DEP_3) | instskip(NEXT) | instid1(VALU_DEP_1)
	v_cndmask_b32_e64 v47, v3, 0x78, vcc_lo
	v_dual_mov_b32 v119, v65 :: v_dual_add_nc_u32 v2, 20, v47
	v_add_nc_u32_e32 v59, 19, v47
	s_delay_alu instid0(VALU_DEP_2) | instskip(NEXT) | instid1(VALU_DEP_2)
	v_lshlrev_b64_e64 v[2:3], v2, -1
	v_lshlrev_b64_e64 v[60:61], v59, 1
	s_delay_alu instid0(VALU_DEP_2) | instskip(NEXT) | instid1(VALU_DEP_3)
	v_bfi_b32 v63, v3, 0, 0
	v_bfi_b32 v62, v2, 0, v118
	v_lshrrev_b64 v[2:3], v47, v[118:119]
	s_delay_alu instid0(VALU_DEP_1) | instskip(NEXT) | instid1(VALU_DEP_3)
	v_mov_b64_e32 v[118:119], v[2:3]
	v_cmpx_eq_u64_e64 v[62:63], v[60:61]
; %bb.1207:                             ;   in Loop: Header=BB2_799 Depth=2
	v_bfe_u32 v118, v2, 20, 1
	v_mov_b32_e32 v119, v65
	s_delay_alu instid0(VALU_DEP_1) | instskip(NEXT) | instid1(VALU_DEP_1)
	v_add_nc_u64_e32 v[118:119], v[2:3], v[118:119]
	v_add_nc_u64_e32 v[118:119], -1, v[118:119]
; %bb.1208:                             ;   in Loop: Header=BB2_799 Depth=2
	s_or_b32 exec_lo, exec_lo, s20
	v_add_nc_u32_e32 v3, 0xffffff81, v46
	v_lshrrev_b32_e32 v119, 23, v2
	s_mov_b32 s7, exec_lo
	s_delay_alu instid0(VALU_DEP_2) | instskip(NEXT) | instid1(VALU_DEP_1)
	v_cndmask_b32_e64 v3, v3, 0xffffff82, vcc_lo
	v_add3_u32 v119, v47, v3, v119
	v_and_b32_e32 v3, 0xfffff, v118
                                        ; implicit-def: $vgpr118
	s_delay_alu instid0(VALU_DEP_1) | instskip(SKIP_1) | instid1(VALU_DEP_2)
	v_dual_add_nc_u32 v46, 6, v119 :: v_dual_add_nc_u32 v2, v3, v2
	v_mov_b32_e32 v3, v65
	v_cmpx_ne_u32_e32 0, v46
	s_xor_b32 s7, exec_lo, s7
; %bb.1209:                             ;   in Loop: Header=BB2_799 Depth=2
	s_delay_alu instid0(VALU_DEP_2) | instskip(SKIP_2) | instid1(VALU_DEP_2)
	v_cmp_lt_u64_e32 vcc_lo, 0xffffff, v[2:3]
	v_add_nc_u32_e32 v118, 7, v119
	v_cndmask_b32_e64 v119, 0, 1, vcc_lo
	v_cndmask_b32_e32 v118, v46, v118, vcc_lo
	s_delay_alu instid0(VALU_DEP_2)
	v_lshrrev_b64 v[2:3], v119, v[2:3]
; %bb.1210:                             ;   in Loop: Header=BB2_799 Depth=2
	s_and_not1_saveexec_b32 s7, s7
; %bb.1211:                             ;   in Loop: Header=BB2_799 Depth=2
	s_delay_alu instid0(VALU_DEP_1)
	v_bfe_u32 v118, v2, 23, 1
; %bb.1212:                             ;   in Loop: Header=BB2_799 Depth=2
	s_or_b32 exec_lo, exec_lo, s7
	s_delay_alu instid0(VALU_DEP_2) | instskip(NEXT) | instid1(VALU_DEP_2)
	v_lshrrev_b64 v[2:3], 20, v[2:3]
	v_cmp_gt_i32_e32 vcc_lo, 16, v118
	v_min_i32_e32 v119, 15, v118
	v_cmp_eq_u32_e64 s7, 0, v118
	s_delay_alu instid0(VALU_DEP_4) | instskip(NEXT) | instid1(VALU_DEP_3)
	v_cndmask_b32_e32 v3, 0, v3, vcc_lo
	v_dual_cndmask_b32 v2, 7, v2 :: v_dual_lshlrev_b32 v119, 3, v119
	s_delay_alu instid0(VALU_DEP_1) | instskip(NEXT) | instid1(VALU_DEP_2)
	v_and_b32_e32 v119, 0xf8, v119
	v_cmp_eq_u64_e32 vcc_lo, 0, v[2:3]
	s_delay_alu instid0(VALU_DEP_2)
	v_and_or_b32 v2, v2, 7, v119
	s_and_b32 s7, s7, vcc_lo
	s_delay_alu instid0(VALU_DEP_1) | instid1(SALU_CYCLE_1)
	v_cndmask_b32_e64 v2, v2, 0, s7
	s_delay_alu instid0(VALU_DEP_1)
	v_or_b32_e32 v118, v2, v5
.LBB2_1213:                             ;   in Loop: Header=BB2_799 Depth=2
	s_or_b32 exec_lo, exec_lo, s19
                                        ; implicit-def: $vgpr5
.LBB2_1214:                             ;   in Loop: Header=BB2_799 Depth=2
	s_and_not1_saveexec_b32 s7, s18
; %bb.1215:                             ;   in Loop: Header=BB2_799 Depth=2
	v_or_b32_e32 v118, 0x7e, v5
; %bb.1216:                             ;   in Loop: Header=BB2_799 Depth=2
	s_or_b32 exec_lo, exec_lo, s7
                                        ; implicit-def: $vgpr3
.LBB2_1217:                             ;   in Loop: Header=BB2_799 Depth=2
	s_and_not1_saveexec_b32 s7, s17
; %bb.1218:                             ;   in Loop: Header=BB2_799 Depth=2
	v_or_b32_e32 v118, 0x7f, v3
; %bb.1219:                             ;   in Loop: Header=BB2_799 Depth=2
	s_or_b32 exec_lo, exec_lo, s7
	v_and_b32_e32 v2, 0xff000000, v4
	v_dual_mov_b32 v3, v65 :: v_dual_mov_b32 v5, 0
	s_delay_alu instid0(VALU_DEP_1)
	v_cmp_ne_u64_e32 vcc_lo, 0, v[2:3]
	v_mov_b32_e32 v2, 0
	s_and_saveexec_b32 s7, vcc_lo
	s_cbranch_execz .LBB2_1227
; %bb.1220:                             ;   in Loop: Header=BB2_799 Depth=2
	v_lshrrev_b32_e32 v119, 24, v4
	v_bfrev_b32_e32 v2, 1
	s_mov_b32 s17, exec_lo
	s_delay_alu instid0(VALU_DEP_2)
	v_cmpx_ne_u32_e32 0x80, v119
	s_cbranch_execz .LBB2_1226
; %bb.1221:                             ;   in Loop: Header=BB2_799 Depth=2
	v_bfe_u32 v46, v4, 24, 7
	v_mov_b32_e32 v2, 0x7f800001
	s_mov_b32 s18, exec_lo
	s_delay_alu instid0(VALU_DEP_2)
	v_cmpx_ne_u32_e32 0x7f, v46
	s_cbranch_execz .LBB2_1225
; %bb.1222:                             ;   in Loop: Header=BB2_799 Depth=2
	v_dual_mov_b32 v3, v65 :: v_dual_bitop2_b32 v2, 7, v119 bitop3:0x40
	v_lshrrev_b32_e32 v4, 3, v46
	s_mov_b32 s19, exec_lo
	v_cmpx_gt_u32_e32 8, v46
; %bb.1223:                             ;   in Loop: Header=BB2_799 Depth=2
	s_delay_alu instid0(VALU_DEP_3) | instskip(NEXT) | instid1(VALU_DEP_1)
	v_clz_i32_u32_e32 v4, v2
	v_min_u32_e32 v4, 32, v4
	s_delay_alu instid0(VALU_DEP_1) | instskip(NEXT) | instid1(VALU_DEP_1)
	v_subrev_nc_u32_e32 v46, 28, v4
	v_lshlrev_b64_e32 v[2:3], v46, v[2:3]
	s_delay_alu instid0(VALU_DEP_1)
	v_dual_sub_nc_u32 v4, 29, v4 :: v_dual_bitop2_b32 v2, 7, v2 bitop3:0x40
; %bb.1224:                             ;   in Loop: Header=BB2_799 Depth=2
	s_or_b32 exec_lo, exec_lo, s19
	s_delay_alu instid0(VALU_DEP_1) | instskip(NEXT) | instid1(VALU_DEP_2)
	v_dual_lshlrev_b32 v3, 24, v119 :: v_dual_lshlrev_b32 v2, 20, v2
	v_lshl_add_u32 v4, v4, 23, 0x3c000000
	s_delay_alu instid0(VALU_DEP_2) | instskip(NEXT) | instid1(VALU_DEP_1)
	v_and_b32_e32 v3, 0x80000000, v3
	v_or3_b32 v2, v2, v3, v4
.LBB2_1225:                             ;   in Loop: Header=BB2_799 Depth=2
	s_or_b32 exec_lo, exec_lo, s18
.LBB2_1226:                             ;   in Loop: Header=BB2_799 Depth=2
	s_delay_alu instid0(SALU_CYCLE_1)
	s_or_b32 exec_lo, exec_lo, s17
.LBB2_1227:                             ;   in Loop: Header=BB2_799 Depth=2
	s_delay_alu instid0(SALU_CYCLE_1) | instskip(NEXT) | instid1(SALU_CYCLE_1)
	s_or_b32 exec_lo, exec_lo, s7
	s_mov_b32 s7, exec_lo
	v_cmpx_lt_u32_e32 0xffffff, v64
	s_cbranch_execz .LBB2_1235
; %bb.1228:                             ;   in Loop: Header=BB2_799 Depth=2
	v_lshrrev_b32_e32 v3, 24, v64
	v_bfrev_b32_e32 v5, 1
	s_mov_b32 s17, exec_lo
	s_delay_alu instid0(VALU_DEP_2)
	v_cmpx_ne_u32_e32 0x80, v3
	s_cbranch_execz .LBB2_1234
; %bb.1229:                             ;   in Loop: Header=BB2_799 Depth=2
	v_bfe_u32 v119, v64, 24, 7
	v_mov_b32_e32 v5, 0x7f800001
	s_mov_b32 s18, exec_lo
	s_delay_alu instid0(VALU_DEP_2)
	v_cmpx_ne_u32_e32 0x7f, v119
	s_cbranch_execz .LBB2_1233
; %bb.1230:                             ;   in Loop: Header=BB2_799 Depth=2
	v_and_b32_e32 v64, 7, v3
	v_lshrrev_b32_e32 v4, 3, v119
	s_mov_b32 s19, exec_lo
	v_cmpx_gt_u32_e32 8, v119
; %bb.1231:                             ;   in Loop: Header=BB2_799 Depth=2
	s_delay_alu instid0(VALU_DEP_3) | instskip(NEXT) | instid1(VALU_DEP_1)
	v_clz_i32_u32_e32 v4, v64
	v_min_u32_e32 v4, 32, v4
	s_delay_alu instid0(VALU_DEP_1) | instskip(NEXT) | instid1(VALU_DEP_1)
	v_subrev_nc_u32_e32 v5, 28, v4
	v_lshlrev_b64_e32 v[46:47], v5, v[64:65]
	s_delay_alu instid0(VALU_DEP_1)
	v_dual_sub_nc_u32 v4, 29, v4 :: v_dual_bitop2_b32 v64, 7, v46 bitop3:0x40
; %bb.1232:                             ;   in Loop: Header=BB2_799 Depth=2
	s_or_b32 exec_lo, exec_lo, s19
	s_delay_alu instid0(VALU_DEP_1) | instskip(NEXT) | instid1(VALU_DEP_2)
	v_dual_lshlrev_b32 v3, 24, v3 :: v_dual_lshlrev_b32 v5, 20, v64
	v_lshl_add_u32 v4, v4, 23, 0x3c000000
	s_delay_alu instid0(VALU_DEP_2) | instskip(NEXT) | instid1(VALU_DEP_1)
	v_and_b32_e32 v3, 0x80000000, v3
	v_or3_b32 v5, v5, v3, v4
.LBB2_1233:                             ;   in Loop: Header=BB2_799 Depth=2
	s_or_b32 exec_lo, exec_lo, s18
.LBB2_1234:                             ;   in Loop: Header=BB2_799 Depth=2
	s_delay_alu instid0(SALU_CYCLE_1)
	s_or_b32 exec_lo, exec_lo, s17
.LBB2_1235:                             ;   in Loop: Header=BB2_799 Depth=2
	s_delay_alu instid0(SALU_CYCLE_1) | instskip(NEXT) | instid1(VALU_DEP_1)
	s_or_b32 exec_lo, exec_lo, s7
	v_add_f32_e32 v3, v2, v5
                                        ; implicit-def: $vgpr2
	s_mov_b32 s7, exec_lo
	s_delay_alu instid0(VALU_DEP_1) | instskip(SKIP_1) | instid1(VALU_DEP_2)
	v_and_b32_e32 v64, 0x7f800000, v3
	v_lshrrev_b32_e32 v4, 24, v3
	v_cmpx_ne_u64_e32 0x7f800000, v[64:65]
	s_xor_b32 s17, exec_lo, s7
	s_cbranch_execz .LBB2_1249
; %bb.1236:                             ;   in Loop: Header=BB2_799 Depth=2
	v_and_b32_e32 v64, 0x7fffffff, v3
	v_and_b32_e32 v119, 0x80, v4
                                        ; implicit-def: $vgpr2
	s_mov_b32 s7, exec_lo
	s_delay_alu instid0(VALU_DEP_2)
	v_cmpx_gt_u64_e32 0x43e00001, v[64:65]
	s_xor_b32 s18, exec_lo, s7
	s_cbranch_execz .LBB2_1246
; %bb.1237:                             ;   in Loop: Header=BB2_799 Depth=2
	v_mov_b32_e32 v2, 0
	s_mov_b32 s19, exec_lo
	v_cmpx_ne_u32_e32 0, v3
	s_cbranch_execz .LBB2_1245
; %bb.1238:                             ;   in Loop: Header=BB2_799 Depth=2
	v_bfe_u32 v46, v3, 23, 8
	v_and_b32_e32 v4, 0x7fffff, v3
	s_delay_alu instid0(VALU_DEP_2) | instskip(SKIP_1) | instid1(VALU_DEP_3)
	v_sub_nc_u32_e32 v2, 0x79, v46
	v_cmp_gt_u32_e32 vcc_lo, 0x7a, v46
	v_or_b32_e32 v5, 0x800000, v4
	s_delay_alu instid0(VALU_DEP_3) | instskip(SKIP_1) | instid1(VALU_DEP_2)
	v_cndmask_b32_e32 v2, 0, v2, vcc_lo
	v_cmp_eq_u32_e32 vcc_lo, 0, v46
	v_cndmask_b32_e64 v47, v2, 0x78, vcc_lo
	s_delay_alu instid0(VALU_DEP_1) | instskip(SKIP_1) | instid1(VALU_DEP_2)
	v_dual_cndmask_b32 v64, v5, v4, vcc_lo :: v_dual_add_nc_u32 v2, 20, v47
	v_add_nc_u32_e32 v59, 19, v47
	v_lshlrev_b64_e64 v[2:3], v2, -1
	s_delay_alu instid0(VALU_DEP_2) | instskip(NEXT) | instid1(VALU_DEP_2)
	v_lshlrev_b64_e64 v[4:5], v59, 1
	v_bfi_b32 v61, v3, 0, 0
	s_delay_alu instid0(VALU_DEP_3) | instskip(SKIP_1) | instid1(VALU_DEP_2)
	v_bfi_b32 v60, v2, 0, v64
	v_lshrrev_b64 v[2:3], v47, v[64:65]
	v_cmp_eq_u64_e64 s7, v[60:61], v[4:5]
	s_delay_alu instid0(VALU_DEP_2)
	v_mov_b64_e32 v[4:5], v[2:3]
	s_and_saveexec_b32 s20, s7
; %bb.1239:                             ;   in Loop: Header=BB2_799 Depth=2
	v_bfe_u32 v64, v2, 20, 1
	s_delay_alu instid0(VALU_DEP_1) | instskip(NEXT) | instid1(VALU_DEP_1)
	v_add_nc_u64_e32 v[4:5], v[2:3], v[64:65]
	v_add_nc_u64_e32 v[4:5], -1, v[4:5]
; %bb.1240:                             ;   in Loop: Header=BB2_799 Depth=2
	s_or_b32 exec_lo, exec_lo, s20
	v_add_nc_u32_e32 v3, 0xffffff81, v46
	v_lshrrev_b32_e32 v5, 23, v2
	s_mov_b32 s7, exec_lo
	s_delay_alu instid0(VALU_DEP_2) | instskip(NEXT) | instid1(VALU_DEP_1)
	v_cndmask_b32_e64 v3, v3, 0xffffff82, vcc_lo
	v_add3_u32 v5, v47, v3, v5
	v_and_b32_e32 v3, 0xfffff, v4
                                        ; implicit-def: $vgpr4
	s_delay_alu instid0(VALU_DEP_1) | instskip(NEXT) | instid1(VALU_DEP_1)
	v_dual_add_nc_u32 v46, 6, v5 :: v_dual_add_nc_u32 v64, v3, v2
                                        ; implicit-def: $vgpr2_vgpr3
	v_cmpx_ne_u32_e32 0, v46
	s_xor_b32 s7, exec_lo, s7
; %bb.1241:                             ;   in Loop: Header=BB2_799 Depth=2
	s_delay_alu instid0(VALU_DEP_2) | instskip(SKIP_1) | instid1(VALU_DEP_1)
	v_cmp_lt_u64_e32 vcc_lo, 0xffffff, v[64:65]
	v_add_nc_u32_e32 v2, 7, v5
	v_cndmask_b32_e32 v4, v46, v2, vcc_lo
	v_cndmask_b32_e64 v2, 0, 1, vcc_lo
	s_delay_alu instid0(VALU_DEP_1)
	v_lshrrev_b64 v[2:3], v2, v[64:65]
; %bb.1242:                             ;   in Loop: Header=BB2_799 Depth=2
	s_and_not1_saveexec_b32 s7, s7
; %bb.1243:                             ;   in Loop: Header=BB2_799 Depth=2
	v_mov_b64_e32 v[2:3], v[64:65]
	v_bfe_u32 v4, v64, 23, 1
; %bb.1244:                             ;   in Loop: Header=BB2_799 Depth=2
	s_or_b32 exec_lo, exec_lo, s7
	s_delay_alu instid0(VALU_DEP_2) | instskip(NEXT) | instid1(VALU_DEP_2)
	v_lshrrev_b64 v[2:3], 20, v[2:3]
	v_cmp_gt_i32_e32 vcc_lo, 16, v4
	v_min_i32_e32 v5, 15, v4
	v_cmp_eq_u32_e64 s7, 0, v4
	s_delay_alu instid0(VALU_DEP_2) | instskip(SKIP_1) | instid1(VALU_DEP_2)
	v_dual_cndmask_b32 v3, 0, v3, vcc_lo :: v_dual_lshlrev_b32 v5, 3, v5
	v_cndmask_b32_e32 v2, 7, v2, vcc_lo
	v_and_b32_e32 v5, 0xf8, v5
	s_delay_alu instid0(VALU_DEP_2) | instskip(NEXT) | instid1(VALU_DEP_2)
	v_cmp_eq_u64_e32 vcc_lo, 0, v[2:3]
	v_and_or_b32 v2, v2, 7, v5
	s_and_b32 s7, s7, vcc_lo
	s_delay_alu instid0(VALU_DEP_1) | instid1(SALU_CYCLE_1)
	v_cndmask_b32_e64 v2, v2, 0, s7
	s_delay_alu instid0(VALU_DEP_1)
	v_or_b32_e32 v2, v2, v119
.LBB2_1245:                             ;   in Loop: Header=BB2_799 Depth=2
	s_or_b32 exec_lo, exec_lo, s19
                                        ; implicit-def: $vgpr119
.LBB2_1246:                             ;   in Loop: Header=BB2_799 Depth=2
	s_and_not1_saveexec_b32 s7, s18
; %bb.1247:                             ;   in Loop: Header=BB2_799 Depth=2
	v_or_b32_e32 v2, 0x7e, v119
; %bb.1248:                             ;   in Loop: Header=BB2_799 Depth=2
	s_or_b32 exec_lo, exec_lo, s7
                                        ; implicit-def: $vgpr4
.LBB2_1249:                             ;   in Loop: Header=BB2_799 Depth=2
	s_and_not1_saveexec_b32 s7, s17
; %bb.1250:                             ;   in Loop: Header=BB2_799 Depth=2
	v_or_b32_e32 v2, 0x7f, v4
; %bb.1251:                             ;   in Loop: Header=BB2_799 Depth=2
	s_or_b32 exec_lo, exec_lo, s7
	v_dual_lshlrev_b32 v3, 16, v40 :: v_dual_lshlrev_b32 v4, 16, v118
	s_delay_alu instid0(VALU_DEP_2) | instskip(SKIP_1) | instid1(VALU_DEP_3)
	v_dual_lshlrev_b32 v5, 24, v41 :: v_dual_lshlrev_b32 v64, 24, v2
	v_cmp_lt_u32_e32 vcc_lo, 7, v58
	v_lshl_or_b32 v2, v44, 8, v3
	s_delay_alu instid0(VALU_DEP_4) | instskip(SKIP_2) | instid1(VALU_DEP_2)
	v_lshl_or_b32 v3, v45, 8, v4
	s_mov_b32 s7, -1
	s_cmp_lg_u32 vcc_lo, exec_lo
	v_or3_b32 v2, v2, v5, v117
	s_delay_alu instid0(VALU_DEP_2)
	v_or3_b32 v3, v3, v64, v43
	s_cbranch_scc0 .LBB2_1267
; %bb.1252:                             ;   in Loop: Header=BB2_799 Depth=2
	s_mov_b32 s17, exec_lo
	flat_store_b8 v[18:19], v117
	s_wait_xcnt 0x0
	v_cmpx_ne_u32_e32 1, v58
	s_cbranch_execz .LBB2_1254
; %bb.1253:                             ;   in Loop: Header=BB2_799 Depth=2
	v_lshrrev_b32_e32 v4, 8, v2
	flat_store_b8 v[18:19], v4 offset:1
.LBB2_1254:                             ;   in Loop: Header=BB2_799 Depth=2
	s_wait_xcnt 0x0
	s_or_b32 exec_lo, exec_lo, s17
	s_delay_alu instid0(SALU_CYCLE_1)
	s_mov_b32 s17, exec_lo
	v_cmpx_lt_u32_e32 2, v58
	s_cbranch_execz .LBB2_1256
; %bb.1255:                             ;   in Loop: Header=BB2_799 Depth=2
	flat_store_d16_hi_b8 v[18:19], v2 offset:2
.LBB2_1256:                             ;   in Loop: Header=BB2_799 Depth=2
	s_wait_xcnt 0x0
	s_or_b32 exec_lo, exec_lo, s17
	s_delay_alu instid0(SALU_CYCLE_1)
	s_mov_b32 s17, exec_lo
	v_cmpx_lt_u32_e32 3, v58
	s_cbranch_execz .LBB2_1258
; %bb.1257:                             ;   in Loop: Header=BB2_799 Depth=2
	v_lshrrev_b32_e32 v4, 24, v2
	flat_store_b8 v[18:19], v4 offset:3
.LBB2_1258:                             ;   in Loop: Header=BB2_799 Depth=2
	s_wait_xcnt 0x0
	s_or_b32 exec_lo, exec_lo, s17
	s_delay_alu instid0(SALU_CYCLE_1)
	s_mov_b32 s17, exec_lo
	v_cmpx_lt_u32_e32 4, v58
	s_cbranch_execz .LBB2_1260
; %bb.1259:                             ;   in Loop: Header=BB2_799 Depth=2
	flat_store_b8 v[18:19], v43 offset:4
.LBB2_1260:                             ;   in Loop: Header=BB2_799 Depth=2
	s_wait_xcnt 0x0
	s_or_b32 exec_lo, exec_lo, s17
	s_delay_alu instid0(SALU_CYCLE_1)
	s_mov_b32 s17, exec_lo
	v_cmpx_lt_u32_e32 5, v58
	s_cbranch_execz .LBB2_1262
; %bb.1261:                             ;   in Loop: Header=BB2_799 Depth=2
	v_lshrrev_b32_e32 v4, 8, v3
	flat_store_b8 v[18:19], v4 offset:5
.LBB2_1262:                             ;   in Loop: Header=BB2_799 Depth=2
	s_wait_xcnt 0x0
	s_or_b32 exec_lo, exec_lo, s17
	s_delay_alu instid0(SALU_CYCLE_1)
	s_mov_b32 s17, exec_lo
	v_cmpx_lt_u32_e32 6, v58
	s_cbranch_execz .LBB2_1264
; %bb.1263:                             ;   in Loop: Header=BB2_799 Depth=2
	flat_store_d16_hi_b8 v[18:19], v3 offset:6
.LBB2_1264:                             ;   in Loop: Header=BB2_799 Depth=2
	s_wait_xcnt 0x0
	s_or_b32 exec_lo, exec_lo, s17
	s_and_saveexec_b32 s7, vcc_lo
	s_cbranch_execz .LBB2_1266
; %bb.1265:                             ;   in Loop: Header=BB2_799 Depth=2
	v_lshrrev_b32_e32 v4, 24, v3
	flat_store_b8 v[18:19], v4 offset:7
.LBB2_1266:                             ;   in Loop: Header=BB2_799 Depth=2
	s_wait_xcnt 0x0
	s_or_b32 exec_lo, exec_lo, s7
	s_mov_b32 s7, 0
.LBB2_1267:                             ;   in Loop: Header=BB2_799 Depth=2
	s_delay_alu instid0(SALU_CYCLE_1)
	s_and_b32 vcc_lo, exec_lo, s7
	s_cbranch_vccz .LBB2_798
; %bb.1268:                             ;   in Loop: Header=BB2_799 Depth=2
	global_store_b64 v[18:19], v[2:3], off
	s_branch .LBB2_798
.LBB2_1269:                             ;   in Loop: Header=BB2_42 Depth=1
	s_or_b32 exec_lo, exec_lo, s16
	s_delay_alu instid0(SALU_CYCLE_1)
	s_or_b32 exec_lo, exec_lo, s8
	s_and_saveexec_b32 s7, s3
	s_cbranch_execz .LBB2_796
.LBB2_1270:                             ;   in Loop: Header=BB2_42 Depth=1
	s_and_saveexec_b32 s8, s4
	s_delay_alu instid0(SALU_CYCLE_1)
	s_xor_b32 s8, exec_lo, s8
	s_cbranch_execz .LBB2_1285
; %bb.1271:                             ;   in Loop: Header=BB2_42 Depth=1
	s_and_saveexec_b32 s16, s5
	s_cbranch_execz .LBB2_1284
; %bb.1272:                             ;   in Loop: Header=BB2_42 Depth=1
	s_mov_b32 s18, exec_lo
	s_mov_b32 s17, exec_lo
	v_mbcnt_lo_u32_b32 v2, s18, 0
	global_wb scope:SCOPE_DEV
	s_wait_storecnt_dscnt 0x0
	global_inv scope:SCOPE_DEV
	v_cmpx_eq_u32_e32 0, v2
	s_cbranch_execz .LBB2_1274
; %bb.1273:                             ;   in Loop: Header=BB2_42 Depth=1
	s_bcnt1_i32_b32 s18, s18
	s_delay_alu instid0(SALU_CYCLE_1)
	v_mov_b32_e32 v64, s18
	s_wait_loadcnt 0x0
	ds_add_u64 v0, v[64:65]
	s_trap 2
.LBB2_1274:                             ;   in Loop: Header=BB2_42 Depth=1
	s_or_b32 exec_lo, exec_lo, s17
	s_trap 2
	ds_load_b64 v[2:3], v0
	s_wait_dscnt 0x0
	v_add_nc_u64_e32 v[52:53], v[52:53], v[82:83]
	s_mov_b32 s17, exec_lo
	s_delay_alu instid0(VALU_DEP_1)
	v_cmpx_lt_u64_e64 v[2:3], v[52:53]
	s_cbranch_execz .LBB2_1283
; %bb.1275:                             ;   in Loop: Header=BB2_42 Depth=1
	s_mov_b32 s18, 0
	s_mov_b32 s21, 0
                                        ; implicit-def: $sgpr19
                                        ; implicit-def: $sgpr20
	s_branch .LBB2_1277
.LBB2_1276:                             ;   in Loop: Header=BB2_1277 Depth=2
	s_or_b32 exec_lo, exec_lo, s23
	s_delay_alu instid0(SALU_CYCLE_1) | instskip(NEXT) | instid1(SALU_CYCLE_1)
	s_and_b32 s22, exec_lo, s24
	s_or_b32 s18, s22, s18
	s_and_not1_b32 s19, s19, exec_lo
	s_and_b32 s22, s20, exec_lo
	s_delay_alu instid0(SALU_CYCLE_1)
	s_or_b32 s19, s19, s22
	s_and_not1_b32 exec_lo, exec_lo, s18
	s_cbranch_execz .LBB2_1281
.LBB2_1277:                             ;   Parent Loop BB2_42 Depth=1
                                        ; =>  This Inner Loop Header: Depth=2
	s_add_co_i32 s21, s21, 1
	s_delay_alu instid0(SALU_CYCLE_1) | instskip(SKIP_1) | instid1(SALU_CYCLE_1)
	s_cmp_lg_u32 s21, 0x2710
	s_cselect_b32 s22, -1, 0
	s_and_b32 vcc_lo, exec_lo, s22
	s_cbranch_vccz .LBB2_1279
; %bb.1278:                             ;   in Loop: Header=BB2_1277 Depth=2
	s_mov_b32 s24, -1
	s_or_b32 s20, s20, exec_lo
	s_and_saveexec_b32 s23, s22
	s_cbranch_execz .LBB2_1276
	s_branch .LBB2_1280
.LBB2_1279:                             ;   in Loop: Header=BB2_1277 Depth=2
	s_trap 2
	ds_load_b64 v[2:3], v0
	s_and_not1_b32 s22, s22, exec_lo
	s_mov_b32 s21, 0
	s_wait_loadcnt_dscnt 0x0
	flat_load_b32 v2, v[2:3] scope:SCOPE_SYS
	s_wait_loadcnt_dscnt 0x0
	global_inv scope:SCOPE_SYS
	v_cmp_eq_u32_e32 vcc_lo, 0, v2
	s_and_b32 s23, vcc_lo, exec_lo
	s_delay_alu instid0(SALU_CYCLE_1)
	s_or_b32 s22, s22, s23
	s_mov_b32 s24, -1
	s_or_b32 s20, s20, exec_lo
	s_and_saveexec_b32 s23, s22
	s_cbranch_execz .LBB2_1276
.LBB2_1280:                             ;   in Loop: Header=BB2_1277 Depth=2
	s_sleep 1
	s_trap 2
	ds_load_b64 v[2:3], v0
	s_wait_dscnt 0x0
	s_and_not1_b32 s20, s20, exec_lo
	v_cmp_ge_u64_e32 vcc_lo, v[2:3], v[52:53]
	s_or_not1_b32 s24, vcc_lo, exec_lo
	s_branch .LBB2_1276
.LBB2_1281:                             ;   in Loop: Header=BB2_42 Depth=1
	s_or_b32 exec_lo, exec_lo, s18
	s_and_saveexec_b32 s18, s19
	s_delay_alu instid0(SALU_CYCLE_1)
	s_xor_b32 s18, exec_lo, s18
	s_cbranch_execz .LBB2_1283
; %bb.1282:                             ;   in Loop: Header=BB2_42 Depth=1
	ds_store_b32 v0, v1
	s_trap 2
.LBB2_1283:                             ;   in Loop: Header=BB2_42 Depth=1
	s_or_b32 exec_lo, exec_lo, s17
	;;#ASMSTART
	s_wakeup
	;;#ASMEND
.LBB2_1284:                             ;   in Loop: Header=BB2_42 Depth=1
	s_or_b32 exec_lo, exec_lo, s16
.LBB2_1285:                             ;   in Loop: Header=BB2_42 Depth=1
	s_and_not1_saveexec_b32 s8, s8
	s_cbranch_execz .LBB2_1287
; %bb.1286:                             ;   in Loop: Header=BB2_42 Depth=1
	global_wb scope:SCOPE_DEV
	s_wait_storecnt 0x0
	s_wait_loadcnt_dscnt 0x0
	global_inv scope:SCOPE_DEV
	s_barrier_signal -1
	s_barrier_wait -1
.LBB2_1287:                             ;   in Loop: Header=BB2_42 Depth=1
	s_or_b32 exec_lo, exec_lo, s8
	s_delay_alu instid0(SALU_CYCLE_1)
	s_or_b32 exec_lo, exec_lo, s7
	s_and_saveexec_b32 s7, s6
	s_cbranch_execz .LBB2_41
.LBB2_1288:                             ;   in Loop: Header=BB2_42 Depth=1
	v_add_nc_u64_e32 v[38:39], 1, v[38:39]
	global_wb scope:SCOPE_SYS
	s_wait_storecnt 0x0
	s_wait_loadcnt_dscnt 0x0
	flat_store_b64 v[48:49], v[38:39] scope:SCOPE_SYS
	s_branch .LBB2_41
.LBB2_1289:
	s_or_b32 exec_lo, exec_lo, s14
	s_delay_alu instid0(SALU_CYCLE_1)
	s_or_b32 exec_lo, exec_lo, s12
	s_and_saveexec_b32 s1, s9
	s_cbranch_execz .LBB2_26
.LBB2_1290:
	s_wait_dscnt 0x0
	flat_store_b64 v[28:29], v[38:39] offset:104
	s_wait_xcnt 0x0
	s_or_b32 exec_lo, exec_lo, s1
	s_and_saveexec_b32 s1, s0
	s_cbranch_execnz .LBB2_27
	s_branch .LBB2_28
.LBB2_1291:
	s_or_b32 exec_lo, exec_lo, s4
	s_and_saveexec_b32 s4, s5
	s_delay_alu instid0(SALU_CYCLE_1)
	s_xor_b32 s4, exec_lo, s4
	s_cbranch_execz .LBB2_1293
; %bb.1292:
	v_mov_b32_e32 v0, 1
	ds_store_b32 v0, v0
	s_trap 2
.LBB2_1293:
	s_or_b32 exec_lo, exec_lo, s3
	;;#ASMSTART
	s_wakeup
	;;#ASMEND
.LBB2_1294:
	s_or_b32 exec_lo, exec_lo, s2
.LBB2_1295:
	s_and_not1_saveexec_b32 s1, s1
	s_cbranch_execz .LBB2_1297
; %bb.1296:
	global_wb scope:SCOPE_DEV
	s_wait_storecnt 0x0
	s_wait_loadcnt_dscnt 0x0
	global_inv scope:SCOPE_DEV
	s_barrier_signal -1
	s_barrier_wait -1
.LBB2_1297:
	s_or_b32 exec_lo, exec_lo, s0
	s_clause 0x19
	scratch_load_b32 v89, off, s32
	scratch_load_b32 v88, off, s32 offset:4
	scratch_load_b32 v79, off, s32 offset:8
	;; [unrolled: 1-line block ×25, first 2 shown]
	s_wait_loadcnt_dscnt 0x0
	s_set_pc_i64 s[30:31]
.Lfunc_end2:
	.size	_ZN12_GLOBAL__N_17runRingI14__hip_fp8_e4m313FuncPreMulSumIS1_E7ProtoLLLi0ELi2ELi0EEEviiP15ncclDevWorkColl, .Lfunc_end2-_ZN12_GLOBAL__N_17runRingI14__hip_fp8_e4m313FuncPreMulSumIS1_E7ProtoLLLi0ELi2ELi0EEEviiP15ncclDevWorkColl
                                        ; -- End function
	.set .L_ZN12_GLOBAL__N_17runRingI14__hip_fp8_e4m313FuncPreMulSumIS1_E7ProtoLLLi0ELi2ELi0EEEviiP15ncclDevWorkColl.num_vgpr, 120
	.set .L_ZN12_GLOBAL__N_17runRingI14__hip_fp8_e4m313FuncPreMulSumIS1_E7ProtoLLLi0ELi2ELi0EEEviiP15ncclDevWorkColl.num_agpr, 0
	.set .L_ZN12_GLOBAL__N_17runRingI14__hip_fp8_e4m313FuncPreMulSumIS1_E7ProtoLLLi0ELi2ELi0EEEviiP15ncclDevWorkColl.numbered_sgpr, 33
	.set .L_ZN12_GLOBAL__N_17runRingI14__hip_fp8_e4m313FuncPreMulSumIS1_E7ProtoLLLi0ELi2ELi0EEEviiP15ncclDevWorkColl.num_named_barrier, 0
	.set .L_ZN12_GLOBAL__N_17runRingI14__hip_fp8_e4m313FuncPreMulSumIS1_E7ProtoLLLi0ELi2ELi0EEEviiP15ncclDevWorkColl.private_seg_size, 108
	.set .L_ZN12_GLOBAL__N_17runRingI14__hip_fp8_e4m313FuncPreMulSumIS1_E7ProtoLLLi0ELi2ELi0EEEviiP15ncclDevWorkColl.uses_vcc, 1
	.set .L_ZN12_GLOBAL__N_17runRingI14__hip_fp8_e4m313FuncPreMulSumIS1_E7ProtoLLLi0ELi2ELi0EEEviiP15ncclDevWorkColl.uses_flat_scratch, 1
	.set .L_ZN12_GLOBAL__N_17runRingI14__hip_fp8_e4m313FuncPreMulSumIS1_E7ProtoLLLi0ELi2ELi0EEEviiP15ncclDevWorkColl.has_dyn_sized_stack, 0
	.set .L_ZN12_GLOBAL__N_17runRingI14__hip_fp8_e4m313FuncPreMulSumIS1_E7ProtoLLLi0ELi2ELi0EEEviiP15ncclDevWorkColl.has_recursion, 0
	.set .L_ZN12_GLOBAL__N_17runRingI14__hip_fp8_e4m313FuncPreMulSumIS1_E7ProtoLLLi0ELi2ELi0EEEviiP15ncclDevWorkColl.has_indirect_call, 0
	.section	.AMDGPU.csdata,"",@progbits
; Function info:
; codeLenInByte = 43372
; TotalNumSgprs: 35
; NumVgprs: 120
; ScratchSize: 108
; MemoryBound: 0
	.text
	.p2align	2                               ; -- Begin function _Z56ncclDevFunc_ReduceScatter_RING_LL_PreMulSum_f8e4m3_0_0_2v
	.type	_Z56ncclDevFunc_ReduceScatter_RING_LL_PreMulSum_f8e4m3_0_0_2v,@function
_Z56ncclDevFunc_ReduceScatter_RING_LL_PreMulSum_f8e4m3_0_0_2v: ; @_Z56ncclDevFunc_ReduceScatter_RING_LL_PreMulSum_f8e4m3_0_0_2v
; %bb.0:
	s_wait_loadcnt_dscnt 0x0
	s_wait_kmcnt 0x0
	s_mov_b32 s46, s33
	s_mov_b32 s33, s32
	s_or_saveexec_b32 s0, -1
	scratch_store_b32 off, v41, s33 offset:4 ; 4-byte Folded Spill
	s_wait_xcnt 0x0
	s_mov_b32 exec_lo, s0
	s_add_co_i32 s32, s32, 16
	scratch_store_b32 off, v40, s33         ; 4-byte Folded Spill
	v_writelane_b32 v41, s30, 0
	v_writelane_b32 v41, s31, 1
	s_trap 2
	ds_load_b32 v0, v0
	s_wait_xcnt 0x0
	v_and_b32_e32 v40, 0x3ff, v31
	s_mov_b32 s29, s12
	s_mov_b64 s[40:41], s[8:9]
	s_mov_b32 s2, exec_lo
	s_wait_dscnt 0x0
	v_cmpx_lt_i32_e64 v40, v0
	s_cbranch_execz .LBB3_5
; %bb.1:
	s_load_b32 s0, s[40:41], 0x0
	s_bfe_u32 s1, ttmp6, 0x4000c
	s_and_b32 s3, ttmp6, 15
	s_add_co_i32 s1, s1, 1
	s_getreg_b32 s4, hwreg(HW_REG_IB_STS2, 6, 4)
	s_mul_i32 s1, ttmp9, s1
	v_mov_b32_e32 v2, v40
	s_add_co_i32 s3, s3, s1
	s_cmp_eq_u32 s4, 0
                                        ; implicit-def: $vgpr3
	s_cselect_b32 s1, ttmp9, s3
	s_mov_b32 s3, 0
	s_wait_kmcnt 0x0
	s_cmp_lt_u32 s1, s0
	s_mov_b32 s1, 0
	s_cselect_b32 s0, 12, 18
	s_delay_alu instid0(SALU_CYCLE_1)
	s_add_nc_u64 s[4:5], s[40:41], s[0:1]
	s_load_u16 s0, s[4:5], 0x0
	s_trap 2
	ds_load_b32 v1, v0
	s_wait_dscnt 0x0
	s_wait_kmcnt 0x0
	v_mul_lo_u32 v1, v1, s0
	s_branch .LBB3_3
.LBB3_2:                                ;   in Loop: Header=BB3_3 Depth=1
	s_or_b32 exec_lo, exec_lo, s4
	v_dual_add_nc_u32 v2, s0, v2 :: v_dual_add_nc_u32 v3, v3, v1
	s_delay_alu instid0(VALU_DEP_1) | instskip(SKIP_1) | instid1(SALU_CYCLE_1)
	v_cmp_ge_i32_e32 vcc_lo, v2, v0
	s_or_b32 s3, vcc_lo, s3
	s_and_not1_b32 exec_lo, exec_lo, s3
	s_cbranch_execz .LBB3_5
.LBB3_3:                                ; =>This Inner Loop Header: Depth=1
	ds_load_b32 v4, v3
	s_mov_b32 s4, exec_lo
	s_wait_dscnt 0x0
	v_and_b32_e32 v4, 0x1000000, v4
	s_delay_alu instid0(VALU_DEP_1)
	v_cmpx_ne_u32_e32 0, v4
	s_cbranch_execz .LBB3_2
; %bb.4:                                ;   in Loop: Header=BB3_3 Depth=1
	ds_load_b64 v[4:5], v3 offset:104
	s_wait_dscnt 0x0
	flat_load_u8 v4, v[4:5]
	s_wait_xcnt 0x0
	v_mov_b32_e32 v5, s1
	s_wait_loadcnt_dscnt 0x0
	v_and_b32_e32 v4, 0xffff, v4
	ds_store_b64 v3, v[4:5] offset:104
	s_branch .LBB3_2
.LBB3_5:
	s_or_b32 exec_lo, exec_lo, s2
	s_wait_storecnt_dscnt 0x0
	s_barrier_signal -1
	s_barrier_wait -1
	s_trap 2
	ds_load_b32 v0, v0
	s_wait_dscnt 0x0
	v_cmp_gt_i32_e32 vcc_lo, 1, v0
	s_cbranch_vccnz .LBB3_13
; %bb.6:
	s_mov_b32 s44, 0
	s_get_pc_i64 s[42:43]
	s_add_nc_u64 s[42:43], s[42:43], _ZN12_GLOBAL__N_17runRingI14__hip_fp8_e4m313FuncPreMulSumIS1_E7ProtoLLLi0ELi2ELi0EEEviiP15ncclDevWorkColl@rel64+4
	s_branch .LBB3_8
.LBB3_7:                                ;   in Loop: Header=BB3_8 Depth=1
	s_or_b32 exec_lo, exec_lo, s45
	s_trap 2
	ds_load_b32 v0, v0
	s_add_co_i32 s44, s44, 1
	s_wait_dscnt 0x0
	v_cmp_lt_i32_e32 vcc_lo, s44, v0
	s_cbranch_vccz .LBB3_13
.LBB3_8:                                ; =>This Inner Loop Header: Depth=1
	s_trap 2
	ds_load_b32 v0, v0
	s_cmp_eq_u32 s44, 0
	s_cbranch_scc1 .LBB3_11
; %bb.9:                                ;   in Loop: Header=BB3_8 Depth=1
	s_trap 2
	s_wait_dscnt 0x0
	ds_load_b32 v1, v0
	s_wait_dscnt 0x0
	v_xor_b32_e32 v1, v1, v0
	s_delay_alu instid0(VALU_DEP_1) | instskip(NEXT) | instid1(VALU_DEP_1)
	v_and_b32_e32 v1, 0xff0000, v1
	v_cmp_eq_u32_e32 vcc_lo, 0, v1
	s_cbranch_vccnz .LBB3_11
; %bb.10:                               ;   in Loop: Header=BB3_8 Depth=1
	s_barrier_signal -1
	s_barrier_wait -1
	ds_load_b32 v0, v0
.LBB3_11:                               ;   in Loop: Header=BB3_8 Depth=1
	s_wait_dscnt 0x0
	v_lshrrev_b32_e32 v0, 11, v0
	s_mov_b32 s45, exec_lo
	s_delay_alu instid0(VALU_DEP_1) | instskip(NEXT) | instid1(VALU_DEP_1)
	v_and_b32_e32 v1, 0x1fe0, v0
	v_cmpx_lt_u32_e64 v40, v1
	s_cbranch_execz .LBB3_7
; %bb.12:                               ;   in Loop: Header=BB3_8 Depth=1
	s_mov_b64 s[0:1], src_shared_base
	s_delay_alu instid0(SALU_CYCLE_1)
	v_dual_mov_b32 v0, v40 :: v_dual_mov_b32 v3, s1
	s_mov_b64 s[8:9], s[40:41]
	s_mov_b32 s12, s29
	s_swap_pc_i64 s[30:31], s[42:43]
	s_branch .LBB3_7
.LBB3_13:
	scratch_load_b32 v40, off, s33          ; 4-byte Folded Reload
	v_readlane_b32 s30, v41, 0
	v_readlane_b32 s31, v41, 1
	s_mov_b32 s32, s33
	s_wait_xcnt 0x0
	s_or_saveexec_b32 s0, -1
	scratch_load_b32 v41, off, s33 offset:4 ; 4-byte Folded Reload
	s_wait_xcnt 0x0
	s_mov_b32 exec_lo, s0
	s_mov_b32 s33, s46
	s_wait_loadcnt 0x0
	s_set_pc_i64 s[30:31]
.Lfunc_end3:
	.size	_Z56ncclDevFunc_ReduceScatter_RING_LL_PreMulSum_f8e4m3_0_0_2v, .Lfunc_end3-_Z56ncclDevFunc_ReduceScatter_RING_LL_PreMulSum_f8e4m3_0_0_2v
                                        ; -- End function
	.set .L_Z56ncclDevFunc_ReduceScatter_RING_LL_PreMulSum_f8e4m3_0_0_2v.num_vgpr, max(42, .L_ZN12_GLOBAL__N_17runRingI14__hip_fp8_e4m313FuncPreMulSumIS1_E7ProtoLLLi0ELi2ELi0EEEviiP15ncclDevWorkColl.num_vgpr)
	.set .L_Z56ncclDevFunc_ReduceScatter_RING_LL_PreMulSum_f8e4m3_0_0_2v.num_agpr, max(0, .L_ZN12_GLOBAL__N_17runRingI14__hip_fp8_e4m313FuncPreMulSumIS1_E7ProtoLLLi0ELi2ELi0EEEviiP15ncclDevWorkColl.num_agpr)
	.set .L_Z56ncclDevFunc_ReduceScatter_RING_LL_PreMulSum_f8e4m3_0_0_2v.numbered_sgpr, max(47, .L_ZN12_GLOBAL__N_17runRingI14__hip_fp8_e4m313FuncPreMulSumIS1_E7ProtoLLLi0ELi2ELi0EEEviiP15ncclDevWorkColl.numbered_sgpr)
	.set .L_Z56ncclDevFunc_ReduceScatter_RING_LL_PreMulSum_f8e4m3_0_0_2v.num_named_barrier, max(0, .L_ZN12_GLOBAL__N_17runRingI14__hip_fp8_e4m313FuncPreMulSumIS1_E7ProtoLLLi0ELi2ELi0EEEviiP15ncclDevWorkColl.num_named_barrier)
	.set .L_Z56ncclDevFunc_ReduceScatter_RING_LL_PreMulSum_f8e4m3_0_0_2v.private_seg_size, 16+max(.L_ZN12_GLOBAL__N_17runRingI14__hip_fp8_e4m313FuncPreMulSumIS1_E7ProtoLLLi0ELi2ELi0EEEviiP15ncclDevWorkColl.private_seg_size)
	.set .L_Z56ncclDevFunc_ReduceScatter_RING_LL_PreMulSum_f8e4m3_0_0_2v.uses_vcc, or(1, .L_ZN12_GLOBAL__N_17runRingI14__hip_fp8_e4m313FuncPreMulSumIS1_E7ProtoLLLi0ELi2ELi0EEEviiP15ncclDevWorkColl.uses_vcc)
	.set .L_Z56ncclDevFunc_ReduceScatter_RING_LL_PreMulSum_f8e4m3_0_0_2v.uses_flat_scratch, or(0, .L_ZN12_GLOBAL__N_17runRingI14__hip_fp8_e4m313FuncPreMulSumIS1_E7ProtoLLLi0ELi2ELi0EEEviiP15ncclDevWorkColl.uses_flat_scratch)
	.set .L_Z56ncclDevFunc_ReduceScatter_RING_LL_PreMulSum_f8e4m3_0_0_2v.has_dyn_sized_stack, or(0, .L_ZN12_GLOBAL__N_17runRingI14__hip_fp8_e4m313FuncPreMulSumIS1_E7ProtoLLLi0ELi2ELi0EEEviiP15ncclDevWorkColl.has_dyn_sized_stack)
	.set .L_Z56ncclDevFunc_ReduceScatter_RING_LL_PreMulSum_f8e4m3_0_0_2v.has_recursion, or(1, .L_ZN12_GLOBAL__N_17runRingI14__hip_fp8_e4m313FuncPreMulSumIS1_E7ProtoLLLi0ELi2ELi0EEEviiP15ncclDevWorkColl.has_recursion)
	.set .L_Z56ncclDevFunc_ReduceScatter_RING_LL_PreMulSum_f8e4m3_0_0_2v.has_indirect_call, or(0, .L_ZN12_GLOBAL__N_17runRingI14__hip_fp8_e4m313FuncPreMulSumIS1_E7ProtoLLLi0ELi2ELi0EEEviiP15ncclDevWorkColl.has_indirect_call)
	.section	.AMDGPU.csdata,"",@progbits
; Function info:
; codeLenInByte = 684
; TotalNumSgprs: 49
; NumVgprs: 120
; ScratchSize: 124
; MemoryBound: 0
	.text
	.p2align	2                               ; -- Begin function _ZN12_GLOBAL__N_17runRingI14__hip_fp8_e4m313FuncPreMulSumIS1_E7ProtoLLLi0ELi4ELi0EEEviiP15ncclDevWorkColl
	.type	_ZN12_GLOBAL__N_17runRingI14__hip_fp8_e4m313FuncPreMulSumIS1_E7ProtoLLLi0ELi4ELi0EEEviiP15ncclDevWorkColl,@function
_ZN12_GLOBAL__N_17runRingI14__hip_fp8_e4m313FuncPreMulSumIS1_E7ProtoLLLi0ELi4ELi0EEEviiP15ncclDevWorkColl: ; @_ZN12_GLOBAL__N_17runRingI14__hip_fp8_e4m313FuncPreMulSumIS1_E7ProtoLLLi0ELi4ELi0EEEviiP15ncclDevWorkColl
; %bb.0:
	s_wait_loadcnt_dscnt 0x0
	s_wait_kmcnt 0x0
	s_clause 0x19
	scratch_store_b32 off, v40, s32 offset:100
	; meta instruction
	scratch_store_b32 off, v41, s32 offset:96
	; meta instruction
	;; [unrolled: 2-line block ×25, first 2 shown]
	scratch_store_b32 off, v89, s32
	s_trap 2
	s_clause 0x2
	flat_load_b32 v12, v[2:3]
	flat_load_b128 v[4:7], v[2:3] offset:72
	flat_load_b64 v[66:67], v[2:3] offset:88
	v_mov_b32_e32 v20, v1
	ds_load_b32 v8, v0
	ds_load_b64 v[22:23], v0
	s_mov_b32 s0, exec_lo
                                        ; implicit-def: $vgpr64_vgpr65
                                        ; implicit-def: $vgpr24_vgpr25
	s_wait_dscnt 0x1
	v_readfirstlane_b32 s10, v8
	s_wait_loadcnt 0x2
	v_bfe_u32 v9, v12, 8, 8
	v_bitop3_b32 v1, v12, 0xff, v12 bitop3:0x3f
	s_delay_alu instid0(VALU_DEP_1) | instskip(NEXT) | instid1(VALU_DEP_1)
	v_add_nc_u32_e32 v10, v9, v1
	v_ashrrev_i32_e32 v11, 31, v10
	s_wait_loadcnt 0x1
	s_delay_alu instid0(VALU_DEP_1) | instskip(SKIP_2) | instid1(VALU_DEP_1)
	v_mul_u64_e32 v[18:19], v[6:7], v[10:11]
	v_and_b32_e32 v10, 0xff, v12
	s_wait_xcnt 0x0
	v_cmpx_ne_u32_e64 v8, v10
	s_xor_b32 s0, exec_lo, s0
	s_cbranch_execz .LBB4_6
; %bb.1:
	s_mov_b32 s1, exec_lo
                                        ; implicit-def: $vgpr64_vgpr65
                                        ; implicit-def: $vgpr24_vgpr25
	v_cmpx_ne_u32_e64 v8, v9
	s_xor_b32 s1, exec_lo, s1
	s_cbranch_execz .LBB4_3
; %bb.2:
	flat_load_b64 v[10:11], v[2:3] offset:96
	v_add_nc_u32_e32 v1, v8, v1
	s_delay_alu instid0(VALU_DEP_1) | instskip(NEXT) | instid1(VALU_DEP_1)
	v_mad_nc_u64_u32 v[24:25], v6, v1, v[4:5]
	v_mad_u32 v8, v7, v1, v25
	v_ashrrev_i32_e32 v1, 31, v1
	s_delay_alu instid0(VALU_DEP_1)
	v_mad_u32 v25, v6, v1, v8
	s_wait_loadcnt_dscnt 0x0
	v_lshrrev_b64 v[64:65], 17, v[10:11]
.LBB4_3:
	s_wait_xcnt 0x0
	s_and_not1_saveexec_b32 s1, s1
	s_cbranch_execz .LBB4_5
; %bb.4:
	flat_load_b32 v1, v[2:3] offset:100
	v_add_nc_u64_e32 v[24:25], v[18:19], v[4:5]
	s_wait_loadcnt 0x1
	v_mov_b64_e32 v[6:7], v[66:67]
	s_wait_loadcnt_dscnt 0x0
	v_lshrrev_b32_e32 v64, 6, v1
.LBB4_5:
	s_wait_xcnt 0x0
	s_or_b32 exec_lo, exec_lo, s1
.LBB4_6:
	s_and_not1_saveexec_b32 s0, s0
	s_cbranch_execz .LBB4_8
; %bb.7:
	flat_load_b64 v[6:7], v[2:3] offset:96
	v_mov_b64_e32 v[24:25], 0
	s_wait_loadcnt_dscnt 0x0
	v_lshlrev_b64_e32 v[64:65], 4, v[6:7]
	v_mov_b64_e32 v[6:7], v[4:5]
.LBB4_8:
	s_wait_xcnt 0x0
	s_or_b32 exec_lo, exec_lo, s0
	s_clause 0x3
	flat_load_b64 v[14:15], v[2:3] offset:104
	flat_load_b128 v[8:11], v[2:3] offset:16
	flat_load_u16 v13, v[2:3] offset:8
	flat_load_b32 v12, v[2:3] offset:4
	v_dual_mov_b32 v1, 0 :: v_dual_mov_b32 v30, 0
	s_mov_b32 s1, 0
	s_mov_b32 s0, exec_lo
	s_wait_loadcnt_dscnt 0x303
	s_wait_xcnt 0x0
	v_and_b32_e32 v2, 0xff, v14
	s_delay_alu instid0(VALU_DEP_1)
	v_cmpx_ne_u16_e32 0, v2
	s_cbranch_execz .LBB4_14
; %bb.9:
	v_bfrev_b32_e32 v30, 1
	s_mov_b32 s2, exec_lo
	v_cmpx_ne_u16_e32 0x80, v2
	s_cbranch_execz .LBB4_13
; %bb.10:
	v_and_b32_e32 v2, 0x7f, v14
	v_mov_b32_e32 v30, 0x7f800001
	s_mov_b32 s3, exec_lo
	s_delay_alu instid0(VALU_DEP_2)
	v_cmpx_ne_u32_e32 0x7f, v2
	s_cbranch_execz .LBB4_12
; %bb.11:
	v_cmp_gt_u32_e32 vcc_lo, 8, v2
	v_and_b32_e32 v3, 7, v14
	s_delay_alu instid0(VALU_DEP_1) | instskip(NEXT) | instid1(VALU_DEP_1)
	v_clz_i32_u32_e32 v3, v3
	v_min_u32_e32 v3, 32, v3
	v_lshrrev_b32_e32 v16, 3, v2
	s_delay_alu instid0(VALU_DEP_2) | instskip(NEXT) | instid1(VALU_DEP_1)
	v_subrev_nc_u32_e32 v17, 28, v3
	v_dual_cndmask_b32 v2, 0, v17 :: v_dual_sub_nc_u32 v3, 29, v3
	s_delay_alu instid0(VALU_DEP_1) | instskip(NEXT) | instid1(VALU_DEP_2)
	v_cndmask_b32_e32 v16, v16, v3, vcc_lo
	v_lshlrev_b64_e32 v[2:3], v2, v[14:15]
	v_lshlrev_b32_e32 v3, 24, v14
	s_delay_alu instid0(VALU_DEP_3) | instskip(NEXT) | instid1(VALU_DEP_2)
	v_lshl_add_u32 v14, v16, 23, 0x3c000000
	v_and_b32_e32 v3, 0x80000000, v3
	s_delay_alu instid0(VALU_DEP_4) | instskip(NEXT) | instid1(VALU_DEP_1)
	v_lshlrev_b32_e32 v2, 20, v2
	v_and_b32_e32 v2, 0x700000, v2
	s_delay_alu instid0(VALU_DEP_1)
	v_or3_b32 v30, v2, v3, v14
.LBB4_12:
	s_or_b32 exec_lo, exec_lo, s3
.LBB4_13:
	s_delay_alu instid0(SALU_CYCLE_1)
	s_or_b32 exec_lo, exec_lo, s2
.LBB4_14:
	s_delay_alu instid0(SALU_CYCLE_1)
	s_or_b32 exec_lo, exec_lo, s0
	s_load_b32 s0, s[8:9], 0x0
	s_bfe_u32 s2, ttmp6, 0x4000c
	s_and_b32 s3, ttmp6, 15
	s_add_co_i32 s2, s2, 1
	s_getreg_b32 s4, hwreg(HW_REG_IB_STS2, 6, 4)
	s_mul_i32 s2, ttmp9, s2
	s_wait_loadcnt_dscnt 0x0
	v_lshrrev_b64 v[14:15], 31, v[12:13]
	s_add_co_i32 s3, s3, s2
	s_cmp_eq_u32 s4, 0
	v_and_b32_e32 v12, 31, v0
	s_cselect_b32 s2, ttmp9, s3
	v_mov_b64_e32 v[26:27], 0
	s_delay_alu instid0(VALU_DEP_3) | instskip(NEXT) | instid1(VALU_DEP_1)
	v_and_b32_e32 v3, 3, v14
	v_and_b32_e32 v13, 0xffff, v3
	s_wait_kmcnt 0x0
	s_cmp_lt_u32 s2, s0
	s_cselect_b32 s0, 12, 18
	s_delay_alu instid0(SALU_CYCLE_1)
	s_add_nc_u64 s[2:3], s[8:9], s[0:1]
	v_cmp_eq_u32_e64 s0, 0, v12
	global_load_u16 v1, v1, s[2:3]
	s_trap 2
	ds_load_b32 v2, v0
	s_wait_dscnt 0x0
	v_cmp_gt_i32_e32 vcc_lo, 0, v2
	s_wait_xcnt 0x0
	v_readfirstlane_b32 s2, v2
	s_cbranch_vccnz .LBB4_16
; %bb.15:
	s_trap 2
	ds_load_b64 v[14:15], v0
	s_mov_b32 s1, 1
	s_wait_dscnt 0x0
	v_readfirstlane_b32 s4, v14
	v_readfirstlane_b32 s5, v15
	flat_load_b64 v[2:3], v2, s[4:5] scale_offset
	s_wait_loadcnt_dscnt 0x0
	v_mad_nc_u64_u32 v[2:3], 0xa8, v13, v[2:3]
	s_clause 0x1
	flat_load_b64 v[32:33], v[2:3] offset:504
	flat_load_b64 v[34:35], v[2:3] offset:608
	v_add_nc_u64_e32 v[28:29], 0x1f8, v[2:3]
	s_wait_xcnt 0x0
	s_delay_alu instid0(VALU_DEP_1)
	v_dual_cndmask_b32 v3, 0, v29, s0 :: v_dual_cndmask_b32 v2, 0, v28, s0
	s_branch .LBB4_17
.LBB4_16:
	v_mov_b64_e32 v[28:29], 0
	v_mov_b64_e32 v[2:3], 0
                                        ; implicit-def: $vgpr34_vgpr35
                                        ; implicit-def: $vgpr32_vgpr33
.LBB4_17:
	s_trap 2
	ds_load_b32 v14, v0
	s_wait_dscnt 0x0
	v_cmp_gt_i32_e32 vcc_lo, 0, v14
	s_cbranch_vccnz .LBB4_19
; %bb.18:
	s_trap 2
	ds_load_b64 v[16:17], v0
	v_cmp_eq_u32_e32 vcc_lo, 0, v12
	s_wait_dscnt 0x0
	v_readfirstlane_b32 s4, v16
	v_readfirstlane_b32 s5, v17
	flat_load_b64 v[14:15], v14, s[4:5] scale_offset
	s_wait_loadcnt_dscnt 0x0
	v_mad_nc_u64_u32 v[26:27], 0xa8, v13, v[14:15]
	s_clause 0x1
	flat_load_b64 v[36:37], v[26:27]
	flat_load_b64 v[16:17], v[26:27] offset:104
	v_dual_cndmask_b32 v53, 0, v27 :: v_dual_cndmask_b32 v52, 0, v26
	s_branch .LBB4_20
.LBB4_19:
	v_mov_b64_e32 v[52:53], 0
                                        ; implicit-def: $vgpr16_vgpr17
                                        ; implicit-def: $vgpr36_vgpr37
.LBB4_20:
	s_wait_xcnt 0x2
	v_subrev_nc_u32_e32 v14, 32, v20
	v_cmp_gt_u32_e32 vcc_lo, s1, v12
	v_mov_b64_e32 v[12:13], 0
	v_mov_b64_e32 v[48:49], 0
                                        ; implicit-def: $vgpr38_vgpr39
	s_delay_alu instid0(VALU_DEP_4)
	v_cmp_ge_i32_e64 s0, v0, v14
	s_and_b32 s9, s0, vcc_lo
	s_wait_xcnt 0x0
	s_and_saveexec_b32 s0, s9
	s_cbranch_execz .LBB4_22
; %bb.21:
	s_clause 0x1
	flat_load_b64 v[48:49], v[2:3] offset:56
	flat_load_b64 v[38:39], v[2:3] offset:104
.LBB4_22:
	s_wait_xcnt 0x0
	s_or_b32 exec_lo, exec_lo, s0
	v_mov_b64_e32 v[50:51], 0
	v_cmp_gt_u32_e64 s0, s1, v0
                                        ; implicit-def: $vgpr54_vgpr55
	s_and_saveexec_b32 s1, s0
	s_cbranch_execz .LBB4_24
; %bb.23:
	flat_load_b64 v[50:51], v[52:53] offset:56
	s_wait_loadcnt_dscnt 0x0
	flat_load_b64 v[54:55], v[50:51] scope:SCOPE_SYS
	s_wait_loadcnt 0x0
	flat_load_b128 v[12:15], v[52:53] offset:96
.LBB4_24:
	s_wait_xcnt 0x0
	s_or_b32 exec_lo, exec_lo, s1
	v_mov_b64_e32 v[52:53], 0
	s_wait_loadcnt 0x0
	v_and_b32_e32 v56, 0xffff, v1
	s_mov_b32 s12, exec_lo
	v_cmpx_ne_u64_e32 0, v[6:7]
	s_cbranch_execnz .LBB4_40
; %bb.25:
	s_or_b32 exec_lo, exec_lo, s12
	s_and_saveexec_b32 s1, s9
	s_cbranch_execnz .LBB4_1290
.LBB4_26:
	s_or_b32 exec_lo, exec_lo, s1
	s_and_saveexec_b32 s1, s0
	s_cbranch_execz .LBB4_28
.LBB4_27:
	s_wait_dscnt 0x0
	flat_store_b64 v[26:27], v[14:15] offset:104
.LBB4_28:
	s_wait_xcnt 0x0
	s_or_b32 exec_lo, exec_lo, s1
	s_delay_alu instid0(SALU_CYCLE_1)
	s_mov_b32 s0, exec_lo
	v_cmpx_ne_u32_e32 32, v20
	s_cbranch_execz .LBB4_1297
; %bb.29:
	s_mov_b32 s1, exec_lo
	v_cmpx_ne_u32_e64 v20, v56
	s_xor_b32 s1, exec_lo, s1
	s_cbranch_execz .LBB4_1295
; %bb.30:
	v_and_b32_e32 v0, 31, v31
	s_mov_b32 s2, exec_lo
	s_delay_alu instid0(VALU_DEP_1)
	v_cmpx_eq_u32_e32 0, v0
	s_cbranch_execz .LBB4_1294
; %bb.31:
	s_mov_b32 s4, exec_lo
	s_mov_b32 s3, exec_lo
	v_mbcnt_lo_u32_b32 v0, s4, 0
	global_wb scope:SCOPE_DEV
	s_wait_storecnt 0x0
	s_wait_loadcnt_dscnt 0x0
	global_inv scope:SCOPE_DEV
	v_cmpx_eq_u32_e32 0, v0
	s_cbranch_execz .LBB4_33
; %bb.32:
	s_bcnt1_i32_b32 s4, s4
	s_delay_alu instid0(SALU_CYCLE_1)
	v_dual_mov_b32 v1, 0 :: v_dual_mov_b32 v0, s4
	s_wait_loadcnt 0x0
	ds_add_u64 v0, v[0:1]
	s_trap 2
.LBB4_33:
	s_or_b32 exec_lo, exec_lo, s3
	s_trap 2
	ds_load_b64 v[2:3], v0
	s_wait_dscnt 0x0
	v_dual_mov_b32 v1, 0 :: v_dual_lshrrev_b32 v0, 5, v20
	s_mov_b32 s3, exec_lo
	s_delay_alu instid0(VALU_DEP_1) | instskip(NEXT) | instid1(VALU_DEP_1)
	v_add_nc_u64_e32 v[0:1], v[52:53], v[0:1]
	v_cmpx_lt_u64_e64 v[2:3], v[0:1]
	s_cbranch_execz .LBB4_1293
; %bb.34:
	s_mov_b32 s4, 0
	s_mov_b32 s7, 0
                                        ; implicit-def: $sgpr5
                                        ; implicit-def: $sgpr6
	s_branch .LBB4_36
.LBB4_35:                               ;   in Loop: Header=BB4_36 Depth=1
	s_or_b32 exec_lo, exec_lo, s9
	s_delay_alu instid0(SALU_CYCLE_1) | instskip(NEXT) | instid1(SALU_CYCLE_1)
	s_and_b32 s8, exec_lo, s10
	s_or_b32 s4, s8, s4
	s_and_not1_b32 s5, s5, exec_lo
	s_and_b32 s8, s6, exec_lo
	s_delay_alu instid0(SALU_CYCLE_1)
	s_or_b32 s5, s5, s8
	s_and_not1_b32 exec_lo, exec_lo, s4
	s_cbranch_execz .LBB4_1291
.LBB4_36:                               ; =>This Inner Loop Header: Depth=1
	s_add_co_i32 s7, s7, 1
	s_delay_alu instid0(SALU_CYCLE_1) | instskip(SKIP_1) | instid1(SALU_CYCLE_1)
	s_cmp_lg_u32 s7, 0x2710
	s_cselect_b32 s8, -1, 0
	s_and_b32 vcc_lo, exec_lo, s8
	s_cbranch_vccz .LBB4_38
; %bb.37:                               ;   in Loop: Header=BB4_36 Depth=1
	s_mov_b32 s10, -1
	s_or_b32 s6, s6, exec_lo
	s_and_saveexec_b32 s9, s8
	s_cbranch_execz .LBB4_35
	s_branch .LBB4_39
.LBB4_38:                               ;   in Loop: Header=BB4_36 Depth=1
	s_trap 2
	ds_load_b64 v[2:3], v0
	s_and_not1_b32 s8, s8, exec_lo
	s_mov_b32 s7, 0
	s_wait_loadcnt_dscnt 0x0
	flat_load_b32 v2, v[2:3] scope:SCOPE_SYS
	s_wait_loadcnt_dscnt 0x0
	global_inv scope:SCOPE_SYS
	v_cmp_eq_u32_e32 vcc_lo, 0, v2
	s_and_b32 s9, vcc_lo, exec_lo
	s_delay_alu instid0(SALU_CYCLE_1)
	s_or_b32 s8, s8, s9
	s_mov_b32 s10, -1
	s_or_b32 s6, s6, exec_lo
	s_and_saveexec_b32 s9, s8
	s_cbranch_execz .LBB4_35
.LBB4_39:                               ;   in Loop: Header=BB4_36 Depth=1
	s_sleep 1
	s_trap 2
	ds_load_b64 v[2:3], v0
	s_wait_dscnt 0x0
	s_and_not1_b32 s6, s6, exec_lo
	v_cmp_ge_u64_e32 vcc_lo, v[2:3], v[0:1]
	s_or_not1_b32 s10, vcc_lo, exec_lo
	s_branch .LBB4_35
.LBB4_40:
	v_add_nc_u64_e32 v[2:3], v[66:67], v[4:5]
	v_dual_mov_b32 v65, 0 :: v_dual_bitop2_b32 v1, 31, v31 bitop3:0x40
	s_ashr_i32 s1, s2, 31
	v_lshlrev_b32_e32 v84, 3, v0
	s_lshr_b32 s1, s1, 29
	s_delay_alu instid0(VALU_DEP_2) | instskip(NEXT) | instid1(VALU_DEP_4)
	v_mov_b32_e32 v85, v65
	v_add_nc_u64_e32 v[68:69], v[2:3], v[18:19]
	v_add_nc_u64_e32 v[2:3], v[24:25], v[10:11]
	v_dual_mov_b32 v21, v65 :: v_dual_lshlrev_b32 v57, 6, v20
	s_add_co_i32 s2, s2, s1
	s_ashr_i32 s11, s10, 31
	v_cmp_eq_u32_e64 s5, 0, v1
	v_dual_mov_b32 v87, v65 :: v_dual_mov_b32 v1, v65
	s_ashr_i32 s4, s2, 3
	s_ashr_i32 s13, s2, 7
	s_lshl_b64 s[2:3], s[10:11], 2
	v_mov_b64_e32 v[80:81], 0
	v_add_nc_u64_e32 v[70:71], s[2:3], v[22:23]
	v_cmp_ne_u64_e64 s1, 0, v[50:51]
	s_wait_dscnt 0x0
	v_cmp_ne_u64_e64 s2, 0, v[12:13]
	v_add_nc_u64_e32 v[96:97], v[10:11], v[84:85]
	v_cmp_ne_u64_e64 s6, 0, v[48:49]
	v_add_nc_u64_e32 v[8:9], v[8:9], v[84:85]
	v_add_nc_u64_e32 v[98:99], v[2:3], v[84:85]
	v_lshlrev_b64_e32 v[102:103], 4, v[20:21]
	v_mov_b64_e32 v[52:53], 0
	v_and_b32_e32 v66, 0x1fffff0, v64
	v_dual_mov_b32 v67, v65 :: v_dual_lshrrev_b32 v82, 5, v20
	s_and_b32 s11, s4, -16
	v_cmp_ne_u32_e64 s3, 32, v20
	v_cmp_ne_u32_e64 s4, v20, v56
	v_dual_mov_b32 v83, v65 :: v_dual_lshlrev_b32 v86, 3, v20
	v_lshl_add_u64 v[100:101], v[0:1], 4, v[36:37]
	v_dual_mov_b32 v1, 1 :: v_dual_mov_b32 v21, 0
	s_cmp_gt_i32 s10, 2
	s_mov_b32 s14, 0
	s_cselect_b32 s15, -1, 0
	s_branch .LBB4_42
.LBB4_41:                               ;   in Loop: Header=BB4_42 Depth=1
	s_wait_xcnt 0x0
	s_or_b32 exec_lo, exec_lo, s7
	v_add_nc_u64_e32 v[80:81], v[80:81], v[66:67]
	v_add_nc_u64_e32 v[34:35], 1, v[34:35]
	;; [unrolled: 1-line block ×3, first 2 shown]
	s_delay_alu instid0(VALU_DEP_3) | instskip(SKIP_1) | instid1(SALU_CYCLE_1)
	v_cmp_ge_u64_e32 vcc_lo, v[80:81], v[6:7]
	s_or_b32 s14, vcc_lo, s14
	s_and_not1_b32 exec_lo, exec_lo, s14
	s_cbranch_execz .LBB4_1289
.LBB4_42:                               ; =>This Loop Header: Depth=1
                                        ;     Child Loop BB4_47 Depth 2
                                        ;     Child Loop BB4_66 Depth 2
	;; [unrolled: 1-line block ×5, first 2 shown]
                                        ;       Child Loop BB4_284 Depth 3
                                        ;       Child Loop BB4_303 Depth 3
	;; [unrolled: 1-line block ×3, first 2 shown]
                                        ;         Child Loop BB4_331 Depth 4
                                        ;       Child Loop BB4_783 Depth 3
                                        ;       Child Loop BB4_320 Depth 3
                                        ;     Child Loop BB4_799 Depth 2
                                        ;       Child Loop BB4_807 Depth 3
                                        ;     Child Loop BB4_1277 Depth 2
	flat_load_b32 v114, v[70:71] offset:-4
	v_sub_nc_u64_e32 v[2:3], v[6:7], v[80:81]
	s_delay_alu instid0(VALU_DEP_1) | instskip(NEXT) | instid1(VALU_DEP_1)
	v_min_u64 v[2:3], v[66:67], v[2:3]
	v_lshl_add_u32 v3, v2, 1, 14
	s_delay_alu instid0(VALU_DEP_1)
	v_and_b32_e32 v59, 0x7fffff0, v3
	s_wait_xcnt 0x0
	s_and_saveexec_b32 s8, s1
	s_cbranch_execz .LBB4_58
; %bb.43:                               ;   in Loop: Header=BB4_42 Depth=1
	v_add_nc_u64_e32 v[4:5], 1, v[14:15]
	v_add_nc_u64_e32 v[18:19], 8, v[54:55]
	s_mov_b32 s16, exec_lo
	s_delay_alu instid0(VALU_DEP_1)
	v_cmpx_lt_u64_e64 v[18:19], v[4:5]
	s_cbranch_execz .LBB4_55
; %bb.44:                               ;   in Loop: Header=BB4_42 Depth=1
	s_mov_b32 s17, 0
	s_mov_b32 s21, 0
	v_cmp_eq_u32_e32 vcc_lo, 0, v21
                                        ; implicit-def: $sgpr18
                                        ; implicit-def: $sgpr19
                                        ; implicit-def: $sgpr20
	s_branch .LBB4_47
.LBB4_45:                               ;   in Loop: Header=BB4_47 Depth=2
	s_or_b32 exec_lo, exec_lo, s26
	s_delay_alu instid0(SALU_CYCLE_1)
	s_and_not1_b32 s7, s20, exec_lo
	s_and_b32 s20, s24, exec_lo
	s_and_not1_b32 s19, s19, exec_lo
	s_and_b32 s23, s23, exec_lo
	s_or_b32 s20, s7, s20
	s_or_b32 s19, s19, s23
.LBB4_46:                               ;   in Loop: Header=BB4_47 Depth=2
	s_or_b32 exec_lo, exec_lo, s22
	s_delay_alu instid0(SALU_CYCLE_1) | instskip(NEXT) | instid1(SALU_CYCLE_1)
	s_and_b32 s7, exec_lo, s19
	s_or_b32 s17, s7, s17
	s_and_not1_b32 s7, s18, exec_lo
	s_and_b32 s18, s20, exec_lo
	s_delay_alu instid0(SALU_CYCLE_1)
	s_or_b32 s18, s7, s18
	s_and_not1_b32 exec_lo, exec_lo, s17
	s_cbranch_execz .LBB4_52
.LBB4_47:                               ;   Parent Loop BB4_42 Depth=1
                                        ; =>  This Inner Loop Header: Depth=2
	s_sleep 1
	s_wait_loadcnt_dscnt 0x0
	flat_load_b64 v[54:55], v[50:51] scope:SCOPE_DEV
	v_mov_b32_e32 v21, 1
	s_or_b32 s20, s20, exec_lo
	s_or_b32 s19, s19, exec_lo
                                        ; implicit-def: $vgpr3
	s_wait_xcnt 0x0
	s_and_saveexec_b32 s22, vcc_lo
	s_cbranch_execz .LBB4_46
; %bb.48:                               ;   in Loop: Header=BB4_47 Depth=2
	s_add_co_i32 s21, s21, 1
	s_mov_b32 s23, -1
	s_cmp_lg_u32 s21, 0x2710
	s_mov_b32 s24, -1
	s_cselect_b32 s25, -1, 0
	s_cmp_eq_u32 s21, 0x2710
                                        ; implicit-def: $vgpr3
	s_cbranch_scc1 .LBB4_50
; %bb.49:                               ;   in Loop: Header=BB4_47 Depth=2
	v_mov_b32_e32 v21, 1
	s_and_saveexec_b32 s26, s25
	s_cbranch_execz .LBB4_45
	s_branch .LBB4_51
.LBB4_50:                               ;   in Loop: Header=BB4_47 Depth=2
	s_trap 2
	ds_load_b64 v[18:19], v0
	s_and_not1_b32 s21, s25, exec_lo
	s_mov_b32 s24, 0
	s_wait_storecnt 0x0
	s_wait_loadcnt_dscnt 0x0
	flat_load_b32 v3, v[18:19] scope:SCOPE_SYS
	s_wait_loadcnt_dscnt 0x0
	global_inv scope:SCOPE_SYS
	v_cmp_eq_u32_e64 s7, 0, v3
	s_and_b32 s7, s7, exec_lo
	s_delay_alu instid0(SALU_CYCLE_1)
	s_or_b32 s25, s21, s7
	s_mov_b32 s21, 0
	v_mov_b32_e32 v21, 1
	s_and_saveexec_b32 s26, s25
	s_cbranch_execz .LBB4_45
.LBB4_51:                               ;   in Loop: Header=BB4_47 Depth=2
	s_wait_loadcnt_dscnt 0x0
	v_add_nc_u64_e32 v[18:19], 8, v[54:55]
	v_mov_b32_e32 v21, 0
	s_or_b32 s24, s24, exec_lo
	s_delay_alu instid0(VALU_DEP_2)
	v_cmp_ge_u64_e64 s7, v[18:19], v[4:5]
	s_or_not1_b32 s23, s7, exec_lo
	s_branch .LBB4_45
.LBB4_52:                               ;   in Loop: Header=BB4_42 Depth=1
	s_or_b32 exec_lo, exec_lo, s17
	s_xor_b32 s7, s18, -1
	s_delay_alu instid0(SALU_CYCLE_1) | instskip(NEXT) | instid1(SALU_CYCLE_1)
	s_and_saveexec_b32 s17, s7
	s_xor_b32 s7, exec_lo, s17
	s_cbranch_execz .LBB4_54
; %bb.53:                               ;   in Loop: Header=BB4_42 Depth=1
	v_mov_b32_e32 v21, 1
	s_wait_storecnt 0x0
	s_wait_loadcnt_dscnt 0x0
	ds_store_b32 v0, v3
	s_trap 2
.LBB4_54:                               ;   in Loop: Header=BB4_42 Depth=1
	s_or_b32 exec_lo, exec_lo, s7
.LBB4_55:                               ;   in Loop: Header=BB4_42 Depth=1
	s_delay_alu instid0(SALU_CYCLE_1)
	s_or_b32 exec_lo, exec_lo, s16
	s_and_saveexec_b32 s7, s2
	s_cbranch_execz .LBB4_57
; %bb.56:                               ;   in Loop: Header=BB4_42 Depth=1
	v_and_b32_e32 v64, 0x7ffffff8, v14
	v_and_b32_e32 v3, 7, v14
	s_delay_alu instid0(VALU_DEP_2) | instskip(NEXT) | instid1(VALU_DEP_2)
	v_cmp_eq_u64_e32 vcc_lo, 0x7ffffff8, v[64:65]
	v_mad_nc_u64_u32 v[14:15], v3, 24, v[12:13]
	v_cndmask_b32_e64 v18, v59, s11, vcc_lo
	s_delay_alu instid0(VALU_DEP_1)
	v_ashrrev_i32_e32 v19, 31, v18
	flat_store_b64 v[14:15], v[18:19] offset:8 scope:SCOPE_SYS
	s_wait_storecnt 0x0
.LBB4_57:                               ;   in Loop: Header=BB4_42 Depth=1
	s_wait_xcnt 0x0
	s_or_b32 exec_lo, exec_lo, s7
	v_mov_b64_e32 v[14:15], v[4:5]
.LBB4_58:                               ;   in Loop: Header=BB4_42 Depth=1
	s_or_b32 exec_lo, exec_lo, s8
	s_and_saveexec_b32 s7, s3
	s_cbranch_execz .LBB4_77
; %bb.59:                               ;   in Loop: Header=BB4_42 Depth=1
	s_and_saveexec_b32 s8, s4
	s_delay_alu instid0(SALU_CYCLE_1)
	s_xor_b32 s8, exec_lo, s8
	s_cbranch_execz .LBB4_74
; %bb.60:                               ;   in Loop: Header=BB4_42 Depth=1
	s_and_saveexec_b32 s16, s5
	s_cbranch_execz .LBB4_73
; %bb.61:                               ;   in Loop: Header=BB4_42 Depth=1
	s_mov_b32 s18, exec_lo
	s_mov_b32 s17, exec_lo
	v_mbcnt_lo_u32_b32 v3, s18, 0
	global_wb scope:SCOPE_DEV
	s_wait_storecnt 0x0
	s_wait_loadcnt_dscnt 0x0
	global_inv scope:SCOPE_DEV
	v_cmpx_eq_u32_e32 0, v3
	s_cbranch_execz .LBB4_63
; %bb.62:                               ;   in Loop: Header=BB4_42 Depth=1
	s_bcnt1_i32_b32 s18, s18
	s_delay_alu instid0(SALU_CYCLE_1)
	v_mov_b32_e32 v64, s18
	s_wait_loadcnt 0x0
	ds_add_u64 v0, v[64:65]
	s_trap 2
.LBB4_63:                               ;   in Loop: Header=BB4_42 Depth=1
	s_or_b32 exec_lo, exec_lo, s17
	s_trap 2
	ds_load_b64 v[4:5], v0
	s_wait_dscnt 0x0
	v_add_nc_u64_e32 v[52:53], v[52:53], v[82:83]
	s_mov_b32 s17, exec_lo
	s_delay_alu instid0(VALU_DEP_1)
	v_cmpx_lt_u64_e64 v[4:5], v[52:53]
	s_cbranch_execz .LBB4_72
; %bb.64:                               ;   in Loop: Header=BB4_42 Depth=1
	s_mov_b32 s18, 0
	s_mov_b32 s21, 0
                                        ; implicit-def: $sgpr19
                                        ; implicit-def: $sgpr20
	s_branch .LBB4_66
.LBB4_65:                               ;   in Loop: Header=BB4_66 Depth=2
	s_or_b32 exec_lo, exec_lo, s23
	s_delay_alu instid0(SALU_CYCLE_1) | instskip(NEXT) | instid1(SALU_CYCLE_1)
	s_and_b32 s22, exec_lo, s24
	s_or_b32 s18, s22, s18
	s_and_not1_b32 s19, s19, exec_lo
	s_and_b32 s22, s20, exec_lo
	s_delay_alu instid0(SALU_CYCLE_1)
	s_or_b32 s19, s19, s22
	s_and_not1_b32 exec_lo, exec_lo, s18
	s_cbranch_execz .LBB4_70
.LBB4_66:                               ;   Parent Loop BB4_42 Depth=1
                                        ; =>  This Inner Loop Header: Depth=2
	s_add_co_i32 s21, s21, 1
	s_delay_alu instid0(SALU_CYCLE_1) | instskip(SKIP_1) | instid1(SALU_CYCLE_1)
	s_cmp_lg_u32 s21, 0x2710
	s_cselect_b32 s22, -1, 0
	s_and_b32 vcc_lo, exec_lo, s22
	s_cbranch_vccz .LBB4_68
; %bb.67:                               ;   in Loop: Header=BB4_66 Depth=2
	s_mov_b32 s24, -1
	s_or_b32 s20, s20, exec_lo
	s_and_saveexec_b32 s23, s22
	s_cbranch_execz .LBB4_65
	s_branch .LBB4_69
.LBB4_68:                               ;   in Loop: Header=BB4_66 Depth=2
	s_trap 2
	ds_load_b64 v[4:5], v0
	s_and_not1_b32 s22, s22, exec_lo
	s_mov_b32 s21, 0
	s_wait_loadcnt_dscnt 0x0
	flat_load_b32 v3, v[4:5] scope:SCOPE_SYS
	s_wait_loadcnt_dscnt 0x0
	global_inv scope:SCOPE_SYS
	v_cmp_eq_u32_e32 vcc_lo, 0, v3
	s_and_b32 s23, vcc_lo, exec_lo
	s_delay_alu instid0(SALU_CYCLE_1)
	s_or_b32 s22, s22, s23
	s_mov_b32 s24, -1
	s_or_b32 s20, s20, exec_lo
	s_and_saveexec_b32 s23, s22
	s_cbranch_execz .LBB4_65
.LBB4_69:                               ;   in Loop: Header=BB4_66 Depth=2
	s_sleep 1
	s_trap 2
	ds_load_b64 v[4:5], v0
	s_wait_dscnt 0x0
	s_and_not1_b32 s20, s20, exec_lo
	v_cmp_ge_u64_e32 vcc_lo, v[4:5], v[52:53]
	s_or_not1_b32 s24, vcc_lo, exec_lo
	s_branch .LBB4_65
.LBB4_70:                               ;   in Loop: Header=BB4_42 Depth=1
	s_or_b32 exec_lo, exec_lo, s18
	s_and_saveexec_b32 s18, s19
	s_delay_alu instid0(SALU_CYCLE_1)
	s_xor_b32 s18, exec_lo, s18
	s_cbranch_execz .LBB4_72
; %bb.71:                               ;   in Loop: Header=BB4_42 Depth=1
	ds_store_b32 v0, v1
	s_trap 2
.LBB4_72:                               ;   in Loop: Header=BB4_42 Depth=1
	s_or_b32 exec_lo, exec_lo, s17
	;;#ASMSTART
	s_wakeup
	;;#ASMEND
.LBB4_73:                               ;   in Loop: Header=BB4_42 Depth=1
	s_or_b32 exec_lo, exec_lo, s16
.LBB4_74:                               ;   in Loop: Header=BB4_42 Depth=1
	s_and_not1_saveexec_b32 s8, s8
	s_cbranch_execz .LBB4_76
; %bb.75:                               ;   in Loop: Header=BB4_42 Depth=1
	global_wb scope:SCOPE_DEV
	s_wait_storecnt 0x0
	s_wait_loadcnt_dscnt 0x0
	global_inv scope:SCOPE_DEV
	s_barrier_signal -1
	s_barrier_wait -1
.LBB4_76:                               ;   in Loop: Header=BB4_42 Depth=1
	s_or_b32 exec_lo, exec_lo, s8
.LBB4_77:                               ;   in Loop: Header=BB4_42 Depth=1
	s_delay_alu instid0(SALU_CYCLE_1) | instskip(SKIP_2) | instid1(VALU_DEP_2)
	s_or_b32 exec_lo, exec_lo, s7
	v_dual_sub_nc_u32 v58, v2, v84 :: v_dual_mov_b32 v18, v0
	v_dual_add_nc_u32 v3, 1, v16 :: v_dual_bitop2_b32 v19, 7, v16 bitop3:0x40
	v_cmp_lt_i32_e64 s7, 0, v58
	s_and_saveexec_b32 s16, s7
	s_cbranch_execz .LBB4_273
; %bb.78:                               ;   in Loop: Header=BB4_42 Depth=1
	s_wait_loadcnt_dscnt 0x0
	v_mad_nc_u64_u32 v[112:113], v68, v114, v[98:99]
	v_mul_lo_u32 v4, v19, s13
	v_mul_lo_u32 v18, v68, v114
	v_dual_mov_b32 v119, v58 :: v_dual_ashrrev_i32 v64, 31, v114
	s_mov_b32 s17, 0
	s_delay_alu instid0(VALU_DEP_4) | instskip(NEXT) | instid1(VALU_DEP_4)
	v_mad_u32 v2, v69, v114, v113
	v_ashrrev_i32_e32 v5, 31, v4
	s_delay_alu instid0(VALU_DEP_4) | instskip(SKIP_1) | instid1(VALU_DEP_3)
	v_add_lshl_u32 v118, v98, v18, 3
	v_mov_b32_e32 v18, v0
	v_lshl_add_u64 v[114:115], v[4:5], 4, v[100:101]
	v_mad_u32 v113, v68, v64, v2
	s_branch .LBB4_80
.LBB4_79:                               ;   in Loop: Header=BB4_80 Depth=2
	s_or_b32 exec_lo, exec_lo, s8
	v_dual_lshlrev_b32 v5, 8, v40 :: v_dual_lshlrev_b32 v64, 16, v41
	v_dual_lshlrev_b32 v116, 8, v44 :: v_dual_lshlrev_b32 v117, 16, v45
	;; [unrolled: 1-line block ×3, first 2 shown]
	s_delay_alu instid0(VALU_DEP_3) | instskip(SKIP_1) | instid1(VALU_DEP_4)
	v_or3_b32 v2, v5, v2, v64
	v_dual_mov_b32 v5, v3 :: v_dual_add_nc_u32 v18, v18, v20
	v_or3_b32 v64, v116, v43, v117
	v_dual_sub_nc_u32 v119, v119, v86 :: v_dual_add_nc_u32 v118, v118, v57
	s_delay_alu instid0(VALU_DEP_4) | instskip(SKIP_1) | instid1(VALU_DEP_4)
	v_or3_b32 v2, v2, v40, 0
	v_add_nc_u64_e32 v[112:113], v[112:113], v[86:87]
	v_or3_b32 v4, v64, v4, 0
	s_delay_alu instid0(VALU_DEP_4) | instskip(SKIP_4) | instid1(SALU_CYCLE_1)
	v_cmp_gt_i32_e32 vcc_lo, 1, v119
	global_store_b128 v[114:115], v[2:5], off
	s_wait_xcnt 0x0
	v_add_nc_u64_e32 v[114:115], v[114:115], v[102:103]
	s_or_b32 s17, vcc_lo, s17
	s_and_not1_b32 exec_lo, exec_lo, s17
	s_cbranch_execz .LBB4_272
.LBB4_80:                               ;   Parent Loop BB4_42 Depth=1
                                        ; =>  This Inner Loop Header: Depth=2
	s_delay_alu instid0(VALU_DEP_1)
	v_dual_mov_b32 v5, v113 :: v_dual_bitop2_b32 v4, -4, v112 bitop3:0x40
	v_min_u32_e32 v64, 8, v119
	v_dual_mov_b32 v43, 0 :: v_dual_bitop2_b32 v116, 3, v112 bitop3:0x40
	v_mov_b32_e32 v44, 0
	global_load_b32 v2, v[4:5], off th:TH_LOAD_NT
	s_mov_b32 s8, exec_lo
	v_add_nc_u32_e32 v64, v116, v64
	s_wait_xcnt 0x0
	s_delay_alu instid0(VALU_DEP_1)
	v_cmpx_lt_u32_e32 4, v64
	s_cbranch_execz .LBB4_82
; %bb.81:                               ;   in Loop: Header=BB4_80 Depth=2
	global_load_b32 v44, v[4:5], off offset:4 th:TH_LOAD_NT
.LBB4_82:                               ;   in Loop: Header=BB4_80 Depth=2
	s_wait_xcnt 0x0
	s_or_b32 exec_lo, exec_lo, s8
	s_delay_alu instid0(SALU_CYCLE_1)
	s_mov_b32 s8, exec_lo
	v_cmpx_lt_u64_e32 8, v[64:65]
	s_cbranch_execz .LBB4_84
; %bb.83:                               ;   in Loop: Header=BB4_80 Depth=2
	global_load_b32 v43, v[4:5], off offset:8 th:TH_LOAD_NT
.LBB4_84:                               ;   in Loop: Header=BB4_80 Depth=2
	s_wait_xcnt 0x0
	s_or_b32 exec_lo, exec_lo, s8
	s_wait_loadcnt 0x0
	v_alignbit_b32 v64, v44, v2, v118
	v_mov_b32_e32 v2, 0
	s_mov_b32 s8, exec_lo
	s_delay_alu instid0(VALU_DEP_2) | instskip(NEXT) | instid1(VALU_DEP_1)
	v_and_b32_e32 v4, 0xff, v64
	v_cmpx_ne_u16_e32 0, v4
	s_cbranch_execz .LBB4_90
; %bb.85:                               ;   in Loop: Header=BB4_80 Depth=2
	v_bfrev_b32_e32 v2, 1
	s_mov_b32 s18, exec_lo
	v_cmpx_ne_u16_e32 0x80, v4
	s_cbranch_execz .LBB4_89
; %bb.86:                               ;   in Loop: Header=BB4_80 Depth=2
	v_and_b32_e32 v4, 0x7f, v64
	v_mov_b32_e32 v2, 0x7f800001
	s_mov_b32 s19, exec_lo
	s_delay_alu instid0(VALU_DEP_2)
	v_cmpx_ne_u32_e32 0x7f, v4
	s_cbranch_execz .LBB4_88
; %bb.87:                               ;   in Loop: Header=BB4_80 Depth=2
	v_and_b32_e32 v2, 7, v64
	v_cmp_gt_u32_e32 vcc_lo, 8, v4
	s_delay_alu instid0(VALU_DEP_2) | instskip(NEXT) | instid1(VALU_DEP_1)
	v_clz_i32_u32_e32 v2, v2
	v_min_u32_e32 v2, 32, v2
	v_lshrrev_b32_e32 v5, 3, v4
	s_delay_alu instid0(VALU_DEP_2) | instskip(NEXT) | instid1(VALU_DEP_1)
	v_subrev_nc_u32_e32 v116, 28, v2
	v_dual_sub_nc_u32 v2, 29, v2 :: v_dual_cndmask_b32 v4, 0, v116, vcc_lo
	s_delay_alu instid0(VALU_DEP_1) | instskip(NEXT) | instid1(VALU_DEP_2)
	v_cndmask_b32_e32 v2, v5, v2, vcc_lo
	v_lshlrev_b64_e32 v[4:5], v4, v[64:65]
	v_lshlrev_b32_e32 v5, 24, v64
	s_delay_alu instid0(VALU_DEP_3) | instskip(NEXT) | instid1(VALU_DEP_2)
	v_lshl_add_u32 v2, v2, 23, 0x3c000000
	v_and_b32_e32 v5, 0x80000000, v5
	s_delay_alu instid0(VALU_DEP_4) | instskip(NEXT) | instid1(VALU_DEP_1)
	v_lshlrev_b32_e32 v4, 20, v4
	v_and_b32_e32 v4, 0x700000, v4
	s_delay_alu instid0(VALU_DEP_1)
	v_or3_b32 v2, v4, v5, v2
.LBB4_88:                               ;   in Loop: Header=BB4_80 Depth=2
	s_or_b32 exec_lo, exec_lo, s19
.LBB4_89:                               ;   in Loop: Header=BB4_80 Depth=2
	s_delay_alu instid0(SALU_CYCLE_1)
	s_or_b32 exec_lo, exec_lo, s18
.LBB4_90:                               ;   in Loop: Header=BB4_80 Depth=2
	s_delay_alu instid0(SALU_CYCLE_1) | instskip(NEXT) | instid1(VALU_DEP_1)
	s_or_b32 exec_lo, exec_lo, s8
	v_dual_mul_f32 v4, v30, v2 :: v_dual_mov_b32 v117, v65
                                        ; implicit-def: $vgpr2
	s_mov_b32 s8, exec_lo
	s_delay_alu instid0(VALU_DEP_1) | instskip(SKIP_1) | instid1(VALU_DEP_2)
	v_and_b32_e32 v116, 0x7f800000, v4
	v_lshrrev_b32_e32 v5, 24, v4
	v_cmpx_ne_u64_e32 0x7f800000, v[116:117]
	s_xor_b32 s18, exec_lo, s8
	s_cbranch_execz .LBB4_104
; %bb.91:                               ;   in Loop: Header=BB4_80 Depth=2
	v_and_b32_e32 v116, 0x7fffffff, v4
	v_mov_b32_e32 v117, v65
	v_and_b32_e32 v40, 0x80, v5
                                        ; implicit-def: $vgpr2
	s_mov_b32 s8, exec_lo
	s_delay_alu instid0(VALU_DEP_2)
	v_cmpx_gt_u64_e32 0x43e00001, v[116:117]
	s_xor_b32 s19, exec_lo, s8
	s_cbranch_execz .LBB4_101
; %bb.92:                               ;   in Loop: Header=BB4_80 Depth=2
	v_mov_b32_e32 v2, 0
	s_mov_b32 s20, exec_lo
	v_cmpx_ne_u32_e32 0, v4
	s_cbranch_execz .LBB4_100
; %bb.93:                               ;   in Loop: Header=BB4_80 Depth=2
	v_bfe_u32 v2, v4, 23, 8
	v_and_b32_e32 v116, 0x7fffff, v4
	s_mov_b32 s21, exec_lo
	s_delay_alu instid0(VALU_DEP_2) | instskip(NEXT) | instid1(VALU_DEP_2)
	v_cmp_gt_u32_e32 vcc_lo, 0x7a, v2
	v_or_b32_e32 v117, 0x800000, v116
	v_sub_nc_u32_e32 v5, 0x79, v2
	s_delay_alu instid0(VALU_DEP_1) | instskip(SKIP_1) | instid1(VALU_DEP_4)
	v_cndmask_b32_e32 v5, 0, v5, vcc_lo
	v_cmp_eq_u32_e32 vcc_lo, 0, v2
	v_cndmask_b32_e32 v116, v117, v116, vcc_lo
	v_mov_b32_e32 v117, v65
	s_delay_alu instid0(VALU_DEP_4) | instskip(NEXT) | instid1(VALU_DEP_1)
	v_cndmask_b32_e64 v41, v5, 0x78, vcc_lo
	v_dual_add_nc_u32 v4, 20, v41 :: v_dual_add_nc_u32 v42, 19, v41
	s_delay_alu instid0(VALU_DEP_1) | instskip(NEXT) | instid1(VALU_DEP_2)
	v_lshlrev_b64_e64 v[4:5], v4, -1
	v_lshlrev_b64_e64 v[46:47], v42, 1
	s_delay_alu instid0(VALU_DEP_2) | instskip(NEXT) | instid1(VALU_DEP_3)
	v_bfi_b32 v61, v5, 0, 0
	v_bfi_b32 v60, v4, 0, v116
	v_lshrrev_b64 v[4:5], v41, v[116:117]
	s_delay_alu instid0(VALU_DEP_1) | instskip(NEXT) | instid1(VALU_DEP_3)
	v_mov_b64_e32 v[116:117], v[4:5]
	v_cmpx_eq_u64_e64 v[60:61], v[46:47]
; %bb.94:                               ;   in Loop: Header=BB4_80 Depth=2
	v_bfe_u32 v116, v4, 20, 1
	v_mov_b32_e32 v117, v65
	s_delay_alu instid0(VALU_DEP_1) | instskip(NEXT) | instid1(VALU_DEP_1)
	v_add_nc_u64_e32 v[116:117], v[4:5], v[116:117]
	v_add_nc_u64_e32 v[116:117], -1, v[116:117]
; %bb.95:                               ;   in Loop: Header=BB4_80 Depth=2
	s_or_b32 exec_lo, exec_lo, s21
	v_add_nc_u32_e32 v2, 0xffffff81, v2
	v_lshrrev_b32_e32 v5, 23, v4
	s_mov_b32 s8, exec_lo
	s_delay_alu instid0(VALU_DEP_2) | instskip(NEXT) | instid1(VALU_DEP_1)
	v_cndmask_b32_e64 v2, v2, 0xffffff82, vcc_lo
	v_add3_u32 v117, v41, v2, v5
	v_and_b32_e32 v2, 0xfffff, v116
	s_delay_alu instid0(VALU_DEP_2) | instskip(NEXT) | instid1(VALU_DEP_2)
	v_dual_mov_b32 v5, v65 :: v_dual_add_nc_u32 v116, 6, v117
	v_add_nc_u32_e32 v4, v2, v4
                                        ; implicit-def: $vgpr2
	s_delay_alu instid0(VALU_DEP_2)
	v_cmpx_ne_u32_e32 0, v116
	s_xor_b32 s8, exec_lo, s8
; %bb.96:                               ;   in Loop: Header=BB4_80 Depth=2
	s_delay_alu instid0(VALU_DEP_2) | instskip(SKIP_1) | instid1(VALU_DEP_1)
	v_cmp_lt_u64_e32 vcc_lo, 0xffffff, v[4:5]
	v_add_nc_u32_e32 v2, 7, v117
	v_cndmask_b32_e32 v2, v116, v2, vcc_lo
	v_cndmask_b32_e64 v116, 0, 1, vcc_lo
	s_delay_alu instid0(VALU_DEP_1)
	v_lshrrev_b64 v[4:5], v116, v[4:5]
; %bb.97:                               ;   in Loop: Header=BB4_80 Depth=2
	s_and_not1_saveexec_b32 s8, s8
; %bb.98:                               ;   in Loop: Header=BB4_80 Depth=2
	s_delay_alu instid0(VALU_DEP_1)
	v_bfe_u32 v2, v4, 23, 1
; %bb.99:                               ;   in Loop: Header=BB4_80 Depth=2
	s_or_b32 exec_lo, exec_lo, s8
	s_delay_alu instid0(VALU_DEP_2) | instskip(NEXT) | instid1(VALU_DEP_2)
	v_lshrrev_b64 v[4:5], 20, v[4:5]
	v_cmp_gt_i32_e32 vcc_lo, 16, v2
	v_min_i32_e32 v116, 15, v2
	v_cmp_eq_u32_e64 s8, 0, v2
	s_delay_alu instid0(VALU_DEP_2) | instskip(SKIP_1) | instid1(VALU_DEP_2)
	v_dual_cndmask_b32 v5, 0, v5 :: v_dual_lshlrev_b32 v116, 3, v116
	v_cndmask_b32_e32 v4, 7, v4, vcc_lo
	v_and_b32_e32 v116, 0xf8, v116
	s_delay_alu instid0(VALU_DEP_2) | instskip(NEXT) | instid1(VALU_DEP_2)
	v_cmp_eq_u64_e32 vcc_lo, 0, v[4:5]
	v_and_or_b32 v2, v4, 7, v116
	s_and_b32 s8, s8, vcc_lo
	s_delay_alu instid0(VALU_DEP_1) | instid1(SALU_CYCLE_1)
	v_cndmask_b32_e64 v2, v2, 0, s8
	s_delay_alu instid0(VALU_DEP_1)
	v_or_b32_e32 v2, v2, v40
.LBB4_100:                              ;   in Loop: Header=BB4_80 Depth=2
	s_or_b32 exec_lo, exec_lo, s20
                                        ; implicit-def: $vgpr40
.LBB4_101:                              ;   in Loop: Header=BB4_80 Depth=2
	s_and_not1_saveexec_b32 s8, s19
; %bb.102:                              ;   in Loop: Header=BB4_80 Depth=2
	v_or_b32_e32 v2, 0x7e, v40
; %bb.103:                              ;   in Loop: Header=BB4_80 Depth=2
	s_or_b32 exec_lo, exec_lo, s8
                                        ; implicit-def: $vgpr5
.LBB4_104:                              ;   in Loop: Header=BB4_80 Depth=2
	s_and_not1_saveexec_b32 s8, s18
; %bb.105:                              ;   in Loop: Header=BB4_80 Depth=2
	v_or_b32_e32 v2, 0x7f, v5
; %bb.106:                              ;   in Loop: Header=BB4_80 Depth=2
	s_or_b32 exec_lo, exec_lo, s8
	v_lshrrev_b16 v5, 8, v64
	v_mov_b32_e32 v4, 0
	s_mov_b32 s8, exec_lo
	s_delay_alu instid0(VALU_DEP_2)
	v_cmpx_ne_u16_e32 0, v5
	s_cbranch_execz .LBB4_114
; %bb.107:                              ;   in Loop: Header=BB4_80 Depth=2
	v_bfrev_b32_e32 v4, 1
	s_mov_b32 s18, exec_lo
	v_cmpx_ne_u16_e32 0x80, v5
	s_cbranch_execz .LBB4_113
; %bb.108:                              ;   in Loop: Header=BB4_80 Depth=2
	v_and_b32_e32 v5, 0xffff, v5
	v_mov_b32_e32 v4, 0x7f800001
	s_mov_b32 s19, exec_lo
	s_delay_alu instid0(VALU_DEP_2) | instskip(NEXT) | instid1(VALU_DEP_1)
	v_and_b32_e32 v117, 0x7f, v5
	v_cmpx_ne_u32_e32 0x7f, v117
	s_cbranch_execz .LBB4_112
; %bb.109:                              ;   in Loop: Header=BB4_80 Depth=2
	v_dual_mov_b32 v5, v65 :: v_dual_bitop2_b32 v4, 7, v5 bitop3:0x40
	v_lshrrev_b32_e32 v116, 3, v117
	s_mov_b32 s20, exec_lo
	v_cmpx_gt_u32_e32 8, v117
; %bb.110:                              ;   in Loop: Header=BB4_80 Depth=2
	s_delay_alu instid0(VALU_DEP_3) | instskip(NEXT) | instid1(VALU_DEP_1)
	v_clz_i32_u32_e32 v116, v4
	v_min_u32_e32 v116, 32, v116
	s_delay_alu instid0(VALU_DEP_1) | instskip(SKIP_1) | instid1(VALU_DEP_2)
	v_subrev_nc_u32_e32 v117, 28, v116
	v_sub_nc_u32_e32 v116, 29, v116
	v_lshlrev_b64_e32 v[4:5], v117, v[4:5]
	s_delay_alu instid0(VALU_DEP_1)
	v_and_b32_e32 v4, 7, v4
; %bb.111:                              ;   in Loop: Header=BB4_80 Depth=2
	s_or_b32 exec_lo, exec_lo, s20
	v_lshlrev_b32_e32 v5, 16, v64
	s_delay_alu instid0(VALU_DEP_2) | instskip(SKIP_1) | instid1(VALU_DEP_3)
	v_lshlrev_b32_e32 v4, 20, v4
	v_lshl_add_u32 v116, v116, 23, 0x3c000000
	v_and_b32_e32 v5, 0x80000000, v5
	s_delay_alu instid0(VALU_DEP_1)
	v_or3_b32 v4, v4, v5, v116
.LBB4_112:                              ;   in Loop: Header=BB4_80 Depth=2
	s_or_b32 exec_lo, exec_lo, s19
.LBB4_113:                              ;   in Loop: Header=BB4_80 Depth=2
	s_delay_alu instid0(SALU_CYCLE_1)
	s_or_b32 exec_lo, exec_lo, s18
.LBB4_114:                              ;   in Loop: Header=BB4_80 Depth=2
	s_delay_alu instid0(SALU_CYCLE_1) | instskip(NEXT) | instid1(VALU_DEP_1)
	s_or_b32 exec_lo, exec_lo, s8
	v_dual_mul_f32 v4, v30, v4 :: v_dual_mov_b32 v117, v65
                                        ; implicit-def: $vgpr40
	s_mov_b32 s8, exec_lo
	s_delay_alu instid0(VALU_DEP_1) | instskip(SKIP_1) | instid1(VALU_DEP_2)
	v_and_b32_e32 v116, 0x7f800000, v4
	v_lshrrev_b32_e32 v5, 24, v4
	v_cmpx_ne_u64_e32 0x7f800000, v[116:117]
	s_xor_b32 s18, exec_lo, s8
	s_cbranch_execz .LBB4_128
; %bb.115:                              ;   in Loop: Header=BB4_80 Depth=2
	v_and_b32_e32 v116, 0x7fffffff, v4
	v_mov_b32_e32 v117, v65
	v_and_b32_e32 v41, 0x80, v5
                                        ; implicit-def: $vgpr40
	s_mov_b32 s8, exec_lo
	s_delay_alu instid0(VALU_DEP_2)
	v_cmpx_gt_u64_e32 0x43e00001, v[116:117]
	s_xor_b32 s19, exec_lo, s8
	s_cbranch_execz .LBB4_125
; %bb.116:                              ;   in Loop: Header=BB4_80 Depth=2
	v_mov_b32_e32 v40, 0
	s_mov_b32 s20, exec_lo
	v_cmpx_ne_u32_e32 0, v4
	s_cbranch_execz .LBB4_124
; %bb.117:                              ;   in Loop: Header=BB4_80 Depth=2
	v_bfe_u32 v40, v4, 23, 8
	v_and_b32_e32 v116, 0x7fffff, v4
	s_mov_b32 s21, exec_lo
	s_delay_alu instid0(VALU_DEP_2) | instskip(SKIP_1) | instid1(VALU_DEP_3)
	v_sub_nc_u32_e32 v5, 0x79, v40
	v_cmp_gt_u32_e32 vcc_lo, 0x7a, v40
	v_or_b32_e32 v117, 0x800000, v116
	s_delay_alu instid0(VALU_DEP_3) | instskip(SKIP_1) | instid1(VALU_DEP_2)
	v_cndmask_b32_e32 v5, 0, v5, vcc_lo
	v_cmp_eq_u32_e32 vcc_lo, 0, v40
	v_cndmask_b32_e64 v42, v5, 0x78, vcc_lo
	s_delay_alu instid0(VALU_DEP_4) | instskip(NEXT) | instid1(VALU_DEP_2)
	v_cndmask_b32_e32 v116, v117, v116, vcc_lo
	v_dual_mov_b32 v117, v65 :: v_dual_add_nc_u32 v4, 20, v42
	v_add_nc_u32_e32 v45, 19, v42
	s_delay_alu instid0(VALU_DEP_2) | instskip(NEXT) | instid1(VALU_DEP_2)
	v_lshlrev_b64_e64 v[4:5], v4, -1
	v_lshlrev_b64_e64 v[46:47], v45, 1
	s_delay_alu instid0(VALU_DEP_2) | instskip(NEXT) | instid1(VALU_DEP_3)
	v_bfi_b32 v61, v5, 0, 0
	v_bfi_b32 v60, v4, 0, v116
	v_lshrrev_b64 v[4:5], v42, v[116:117]
	s_delay_alu instid0(VALU_DEP_1) | instskip(NEXT) | instid1(VALU_DEP_3)
	v_mov_b64_e32 v[116:117], v[4:5]
	v_cmpx_eq_u64_e64 v[60:61], v[46:47]
; %bb.118:                              ;   in Loop: Header=BB4_80 Depth=2
	v_bfe_u32 v116, v4, 20, 1
	v_mov_b32_e32 v117, v65
	s_delay_alu instid0(VALU_DEP_1) | instskip(NEXT) | instid1(VALU_DEP_1)
	v_add_nc_u64_e32 v[116:117], v[4:5], v[116:117]
	v_add_nc_u64_e32 v[116:117], -1, v[116:117]
; %bb.119:                              ;   in Loop: Header=BB4_80 Depth=2
	s_or_b32 exec_lo, exec_lo, s21
	v_add_nc_u32_e32 v5, 0xffffff81, v40
	v_lshrrev_b32_e32 v117, 23, v4
	s_mov_b32 s8, exec_lo
	s_delay_alu instid0(VALU_DEP_2) | instskip(NEXT) | instid1(VALU_DEP_1)
	v_cndmask_b32_e64 v5, v5, 0xffffff82, vcc_lo
	v_add3_u32 v117, v42, v5, v117
	v_and_b32_e32 v5, 0xfffff, v116
                                        ; implicit-def: $vgpr116
	s_delay_alu instid0(VALU_DEP_1) | instskip(SKIP_1) | instid1(VALU_DEP_2)
	v_dual_add_nc_u32 v40, 6, v117 :: v_dual_add_nc_u32 v4, v5, v4
	v_mov_b32_e32 v5, v65
	v_cmpx_ne_u32_e32 0, v40
	s_xor_b32 s8, exec_lo, s8
; %bb.120:                              ;   in Loop: Header=BB4_80 Depth=2
	s_delay_alu instid0(VALU_DEP_2) | instskip(SKIP_2) | instid1(VALU_DEP_2)
	v_cmp_lt_u64_e32 vcc_lo, 0xffffff, v[4:5]
	v_add_nc_u32_e32 v116, 7, v117
	v_cndmask_b32_e64 v117, 0, 1, vcc_lo
	v_cndmask_b32_e32 v116, v40, v116, vcc_lo
	s_delay_alu instid0(VALU_DEP_2)
	v_lshrrev_b64 v[4:5], v117, v[4:5]
; %bb.121:                              ;   in Loop: Header=BB4_80 Depth=2
	s_and_not1_saveexec_b32 s8, s8
; %bb.122:                              ;   in Loop: Header=BB4_80 Depth=2
	s_delay_alu instid0(VALU_DEP_1)
	v_bfe_u32 v116, v4, 23, 1
; %bb.123:                              ;   in Loop: Header=BB4_80 Depth=2
	s_or_b32 exec_lo, exec_lo, s8
	s_delay_alu instid0(VALU_DEP_2) | instskip(NEXT) | instid1(VALU_DEP_2)
	v_lshrrev_b64 v[4:5], 20, v[4:5]
	v_cmp_gt_i32_e32 vcc_lo, 16, v116
	v_min_i32_e32 v117, 15, v116
	v_cmp_eq_u32_e64 s8, 0, v116
	s_delay_alu instid0(VALU_DEP_4) | instskip(NEXT) | instid1(VALU_DEP_3)
	v_cndmask_b32_e32 v5, 0, v5, vcc_lo
	v_dual_cndmask_b32 v4, 7, v4 :: v_dual_lshlrev_b32 v117, 3, v117
	s_delay_alu instid0(VALU_DEP_1) | instskip(NEXT) | instid1(VALU_DEP_2)
	v_and_b32_e32 v117, 0xf8, v117
	v_cmp_eq_u64_e32 vcc_lo, 0, v[4:5]
	s_delay_alu instid0(VALU_DEP_2)
	v_and_or_b32 v4, v4, 7, v117
	s_and_b32 s8, s8, vcc_lo
	s_delay_alu instid0(VALU_DEP_1) | instid1(SALU_CYCLE_1)
	v_cndmask_b32_e64 v4, v4, 0, s8
	s_delay_alu instid0(VALU_DEP_1)
	v_or_b32_e32 v40, v4, v41
.LBB4_124:                              ;   in Loop: Header=BB4_80 Depth=2
	s_or_b32 exec_lo, exec_lo, s20
                                        ; implicit-def: $vgpr41
.LBB4_125:                              ;   in Loop: Header=BB4_80 Depth=2
	s_and_not1_saveexec_b32 s8, s19
; %bb.126:                              ;   in Loop: Header=BB4_80 Depth=2
	v_or_b32_e32 v40, 0x7e, v41
; %bb.127:                              ;   in Loop: Header=BB4_80 Depth=2
	s_or_b32 exec_lo, exec_lo, s8
                                        ; implicit-def: $vgpr5
.LBB4_128:                              ;   in Loop: Header=BB4_80 Depth=2
	s_and_not1_saveexec_b32 s8, s18
; %bb.129:                              ;   in Loop: Header=BB4_80 Depth=2
	v_or_b32_e32 v40, 0x7f, v5
; %bb.130:                              ;   in Loop: Header=BB4_80 Depth=2
	s_or_b32 exec_lo, exec_lo, s8
	v_dual_lshrrev_b32 v116, 16, v64 :: v_dual_mov_b32 v4, 0
	s_mov_b32 s8, exec_lo
	s_delay_alu instid0(VALU_DEP_1) | instskip(NEXT) | instid1(VALU_DEP_1)
	v_and_b32_e32 v5, 0xff, v116
	v_cmpx_ne_u16_e32 0, v5
	s_cbranch_execz .LBB4_138
; %bb.131:                              ;   in Loop: Header=BB4_80 Depth=2
	v_bfrev_b32_e32 v4, 1
	s_mov_b32 s18, exec_lo
	v_cmpx_ne_u16_e32 0x80, v5
	s_cbranch_execz .LBB4_137
; %bb.132:                              ;   in Loop: Header=BB4_80 Depth=2
	v_bfe_u32 v41, v64, 16, 7
	v_mov_b32_e32 v4, 0x7f800001
	s_mov_b32 s19, exec_lo
	s_delay_alu instid0(VALU_DEP_2)
	v_cmpx_ne_u32_e32 0x7f, v41
	s_cbranch_execz .LBB4_136
; %bb.133:                              ;   in Loop: Header=BB4_80 Depth=2
	v_dual_mov_b32 v5, v65 :: v_dual_bitop2_b32 v4, 7, v116 bitop3:0x40
	v_lshrrev_b32_e32 v117, 3, v41
	s_mov_b32 s20, exec_lo
	v_cmpx_gt_u32_e32 8, v41
; %bb.134:                              ;   in Loop: Header=BB4_80 Depth=2
	s_delay_alu instid0(VALU_DEP_3) | instskip(NEXT) | instid1(VALU_DEP_1)
	v_clz_i32_u32_e32 v117, v4
	v_min_u32_e32 v117, 32, v117
	s_delay_alu instid0(VALU_DEP_1) | instskip(NEXT) | instid1(VALU_DEP_1)
	v_subrev_nc_u32_e32 v41, 28, v117
	v_lshlrev_b64_e32 v[4:5], v41, v[4:5]
	s_delay_alu instid0(VALU_DEP_1)
	v_dual_sub_nc_u32 v117, 29, v117 :: v_dual_bitop2_b32 v4, 7, v4 bitop3:0x40
; %bb.135:                              ;   in Loop: Header=BB4_80 Depth=2
	s_or_b32 exec_lo, exec_lo, s20
	v_lshlrev_b32_e32 v5, 24, v116
	s_delay_alu instid0(VALU_DEP_2) | instskip(NEXT) | instid1(VALU_DEP_3)
	v_lshlrev_b32_e32 v4, 20, v4
	v_lshl_add_u32 v116, v117, 23, 0x3c000000
	s_delay_alu instid0(VALU_DEP_3) | instskip(NEXT) | instid1(VALU_DEP_1)
	v_and_b32_e32 v5, 0x80000000, v5
	v_or3_b32 v4, v4, v5, v116
.LBB4_136:                              ;   in Loop: Header=BB4_80 Depth=2
	s_or_b32 exec_lo, exec_lo, s19
.LBB4_137:                              ;   in Loop: Header=BB4_80 Depth=2
	s_delay_alu instid0(SALU_CYCLE_1)
	s_or_b32 exec_lo, exec_lo, s18
.LBB4_138:                              ;   in Loop: Header=BB4_80 Depth=2
	s_delay_alu instid0(SALU_CYCLE_1) | instskip(NEXT) | instid1(VALU_DEP_1)
	s_or_b32 exec_lo, exec_lo, s8
	v_dual_mul_f32 v4, v30, v4 :: v_dual_mov_b32 v117, v65
                                        ; implicit-def: $vgpr41
	s_mov_b32 s8, exec_lo
	s_delay_alu instid0(VALU_DEP_1) | instskip(SKIP_1) | instid1(VALU_DEP_2)
	v_and_b32_e32 v116, 0x7f800000, v4
	v_lshrrev_b32_e32 v5, 24, v4
	v_cmpx_ne_u64_e32 0x7f800000, v[116:117]
	s_xor_b32 s18, exec_lo, s8
	s_cbranch_execz .LBB4_152
; %bb.139:                              ;   in Loop: Header=BB4_80 Depth=2
	v_and_b32_e32 v116, 0x7fffffff, v4
	v_mov_b32_e32 v117, v65
	v_and_b32_e32 v42, 0x80, v5
                                        ; implicit-def: $vgpr41
	s_mov_b32 s8, exec_lo
	s_delay_alu instid0(VALU_DEP_2)
	v_cmpx_gt_u64_e32 0x43e00001, v[116:117]
	s_xor_b32 s19, exec_lo, s8
	s_cbranch_execz .LBB4_149
; %bb.140:                              ;   in Loop: Header=BB4_80 Depth=2
	v_mov_b32_e32 v41, 0
	s_mov_b32 s20, exec_lo
	v_cmpx_ne_u32_e32 0, v4
	s_cbranch_execz .LBB4_148
; %bb.141:                              ;   in Loop: Header=BB4_80 Depth=2
	v_bfe_u32 v41, v4, 23, 8
	v_and_b32_e32 v116, 0x7fffff, v4
	s_mov_b32 s21, exec_lo
	s_delay_alu instid0(VALU_DEP_2) | instskip(NEXT) | instid1(VALU_DEP_2)
	v_cmp_gt_u32_e32 vcc_lo, 0x7a, v41
	v_or_b32_e32 v117, 0x800000, v116
	v_sub_nc_u32_e32 v5, 0x79, v41
	s_delay_alu instid0(VALU_DEP_1) | instskip(SKIP_1) | instid1(VALU_DEP_4)
	v_cndmask_b32_e32 v5, 0, v5, vcc_lo
	v_cmp_eq_u32_e32 vcc_lo, 0, v41
	v_cndmask_b32_e32 v116, v117, v116, vcc_lo
	v_mov_b32_e32 v117, v65
	s_delay_alu instid0(VALU_DEP_4) | instskip(NEXT) | instid1(VALU_DEP_1)
	v_cndmask_b32_e64 v45, v5, 0x78, vcc_lo
	v_dual_add_nc_u32 v4, 20, v45 :: v_dual_add_nc_u32 v46, 19, v45
	s_delay_alu instid0(VALU_DEP_1) | instskip(NEXT) | instid1(VALU_DEP_2)
	v_lshlrev_b64_e64 v[4:5], v4, -1
	v_lshlrev_b64_e64 v[46:47], v46, 1
	s_delay_alu instid0(VALU_DEP_2) | instskip(NEXT) | instid1(VALU_DEP_3)
	v_bfi_b32 v61, v5, 0, 0
	v_bfi_b32 v60, v4, 0, v116
	v_lshrrev_b64 v[4:5], v45, v[116:117]
	s_delay_alu instid0(VALU_DEP_1) | instskip(NEXT) | instid1(VALU_DEP_3)
	v_mov_b64_e32 v[116:117], v[4:5]
	v_cmpx_eq_u64_e64 v[60:61], v[46:47]
; %bb.142:                              ;   in Loop: Header=BB4_80 Depth=2
	v_bfe_u32 v116, v4, 20, 1
	v_mov_b32_e32 v117, v65
	s_delay_alu instid0(VALU_DEP_1) | instskip(NEXT) | instid1(VALU_DEP_1)
	v_add_nc_u64_e32 v[116:117], v[4:5], v[116:117]
	v_add_nc_u64_e32 v[116:117], -1, v[116:117]
; %bb.143:                              ;   in Loop: Header=BB4_80 Depth=2
	s_or_b32 exec_lo, exec_lo, s21
	v_add_nc_u32_e32 v5, 0xffffff81, v41
	v_lshrrev_b32_e32 v117, 23, v4
	s_mov_b32 s8, exec_lo
	s_delay_alu instid0(VALU_DEP_2) | instskip(NEXT) | instid1(VALU_DEP_1)
	v_cndmask_b32_e64 v5, v5, 0xffffff82, vcc_lo
	v_add3_u32 v117, v45, v5, v117
	v_and_b32_e32 v5, 0xfffff, v116
                                        ; implicit-def: $vgpr116
	s_delay_alu instid0(VALU_DEP_1) | instskip(SKIP_1) | instid1(VALU_DEP_2)
	v_dual_add_nc_u32 v41, 6, v117 :: v_dual_add_nc_u32 v4, v5, v4
	v_mov_b32_e32 v5, v65
	v_cmpx_ne_u32_e32 0, v41
	s_xor_b32 s8, exec_lo, s8
; %bb.144:                              ;   in Loop: Header=BB4_80 Depth=2
	s_delay_alu instid0(VALU_DEP_2) | instskip(SKIP_2) | instid1(VALU_DEP_2)
	v_cmp_lt_u64_e32 vcc_lo, 0xffffff, v[4:5]
	v_add_nc_u32_e32 v116, 7, v117
	v_cndmask_b32_e64 v117, 0, 1, vcc_lo
	v_cndmask_b32_e32 v116, v41, v116, vcc_lo
	s_delay_alu instid0(VALU_DEP_2)
	v_lshrrev_b64 v[4:5], v117, v[4:5]
; %bb.145:                              ;   in Loop: Header=BB4_80 Depth=2
	s_and_not1_saveexec_b32 s8, s8
; %bb.146:                              ;   in Loop: Header=BB4_80 Depth=2
	s_delay_alu instid0(VALU_DEP_1)
	v_bfe_u32 v116, v4, 23, 1
; %bb.147:                              ;   in Loop: Header=BB4_80 Depth=2
	s_or_b32 exec_lo, exec_lo, s8
	s_delay_alu instid0(VALU_DEP_2) | instskip(NEXT) | instid1(VALU_DEP_2)
	v_lshrrev_b64 v[4:5], 20, v[4:5]
	v_cmp_gt_i32_e32 vcc_lo, 16, v116
	v_min_i32_e32 v117, 15, v116
	v_cmp_eq_u32_e64 s8, 0, v116
	s_delay_alu instid0(VALU_DEP_4) | instskip(NEXT) | instid1(VALU_DEP_3)
	v_cndmask_b32_e32 v5, 0, v5, vcc_lo
	v_dual_cndmask_b32 v4, 7, v4 :: v_dual_lshlrev_b32 v117, 3, v117
	s_delay_alu instid0(VALU_DEP_1) | instskip(NEXT) | instid1(VALU_DEP_2)
	v_and_b32_e32 v117, 0xf8, v117
	v_cmp_eq_u64_e32 vcc_lo, 0, v[4:5]
	s_delay_alu instid0(VALU_DEP_2)
	v_and_or_b32 v4, v4, 7, v117
	s_and_b32 s8, s8, vcc_lo
	s_delay_alu instid0(VALU_DEP_1) | instid1(SALU_CYCLE_1)
	v_cndmask_b32_e64 v4, v4, 0, s8
	s_delay_alu instid0(VALU_DEP_1)
	v_or_b32_e32 v41, v4, v42
.LBB4_148:                              ;   in Loop: Header=BB4_80 Depth=2
	s_or_b32 exec_lo, exec_lo, s20
                                        ; implicit-def: $vgpr42
.LBB4_149:                              ;   in Loop: Header=BB4_80 Depth=2
	s_and_not1_saveexec_b32 s8, s19
; %bb.150:                              ;   in Loop: Header=BB4_80 Depth=2
	v_or_b32_e32 v41, 0x7e, v42
; %bb.151:                              ;   in Loop: Header=BB4_80 Depth=2
	s_or_b32 exec_lo, exec_lo, s8
                                        ; implicit-def: $vgpr5
.LBB4_152:                              ;   in Loop: Header=BB4_80 Depth=2
	s_and_not1_saveexec_b32 s8, s18
; %bb.153:                              ;   in Loop: Header=BB4_80 Depth=2
	v_or_b32_e32 v41, 0x7f, v5
; %bb.154:                              ;   in Loop: Header=BB4_80 Depth=2
	s_or_b32 exec_lo, exec_lo, s8
	v_mov_b32_e32 v5, 0
	s_mov_b32 s8, exec_lo
	v_cmpx_lt_u32_e32 0xffffff, v64
	s_cbranch_execz .LBB4_162
; %bb.155:                              ;   in Loop: Header=BB4_80 Depth=2
	v_lshrrev_b32_e32 v4, 24, v64
	v_bfrev_b32_e32 v5, 1
	s_mov_b32 s18, exec_lo
	s_delay_alu instid0(VALU_DEP_2)
	v_cmpx_ne_u32_e32 0x80, v4
	s_cbranch_execz .LBB4_161
; %bb.156:                              ;   in Loop: Header=BB4_80 Depth=2
	v_bfe_u32 v116, v64, 24, 7
	v_mov_b32_e32 v5, 0x7f800001
	s_mov_b32 s19, exec_lo
	s_delay_alu instid0(VALU_DEP_2)
	v_cmpx_ne_u32_e32 0x7f, v116
	s_cbranch_execz .LBB4_160
; %bb.157:                              ;   in Loop: Header=BB4_80 Depth=2
	v_and_b32_e32 v64, 7, v4
	v_lshrrev_b32_e32 v5, 3, v116
	s_mov_b32 s20, exec_lo
	v_cmpx_gt_u32_e32 8, v116
; %bb.158:                              ;   in Loop: Header=BB4_80 Depth=2
	s_delay_alu instid0(VALU_DEP_3) | instskip(NEXT) | instid1(VALU_DEP_1)
	v_clz_i32_u32_e32 v5, v64
	v_min_u32_e32 v5, 32, v5
	s_delay_alu instid0(VALU_DEP_1) | instskip(NEXT) | instid1(VALU_DEP_1)
	v_subrev_nc_u32_e32 v116, 28, v5
	v_lshlrev_b64_e32 v[116:117], v116, v[64:65]
	s_delay_alu instid0(VALU_DEP_1)
	v_dual_sub_nc_u32 v5, 29, v5 :: v_dual_bitop2_b32 v64, 7, v116 bitop3:0x40
; %bb.159:                              ;   in Loop: Header=BB4_80 Depth=2
	s_or_b32 exec_lo, exec_lo, s20
	v_lshlrev_b32_e32 v4, 24, v4
	s_delay_alu instid0(VALU_DEP_2) | instskip(NEXT) | instid1(VALU_DEP_3)
	v_lshlrev_b32_e32 v64, 20, v64
	v_lshl_add_u32 v5, v5, 23, 0x3c000000
	s_delay_alu instid0(VALU_DEP_3) | instskip(NEXT) | instid1(VALU_DEP_1)
	v_and_b32_e32 v4, 0x80000000, v4
	v_or3_b32 v5, v64, v4, v5
.LBB4_160:                              ;   in Loop: Header=BB4_80 Depth=2
	s_or_b32 exec_lo, exec_lo, s19
.LBB4_161:                              ;   in Loop: Header=BB4_80 Depth=2
	s_delay_alu instid0(SALU_CYCLE_1)
	s_or_b32 exec_lo, exec_lo, s18
.LBB4_162:                              ;   in Loop: Header=BB4_80 Depth=2
	s_delay_alu instid0(SALU_CYCLE_1) | instskip(NEXT) | instid1(VALU_DEP_1)
	s_or_b32 exec_lo, exec_lo, s8
	v_mul_f32_e32 v4, v30, v5
                                        ; implicit-def: $vgpr42
	s_mov_b32 s8, exec_lo
	s_delay_alu instid0(VALU_DEP_1) | instskip(SKIP_1) | instid1(VALU_DEP_2)
	v_and_b32_e32 v64, 0x7f800000, v4
	v_lshrrev_b32_e32 v5, 24, v4
	v_cmpx_ne_u64_e32 0x7f800000, v[64:65]
	s_xor_b32 s18, exec_lo, s8
	s_cbranch_execz .LBB4_176
; %bb.163:                              ;   in Loop: Header=BB4_80 Depth=2
	v_and_b32_e32 v64, 0x7fffffff, v4
	v_and_b32_e32 v45, 0x80, v5
                                        ; implicit-def: $vgpr42
	s_mov_b32 s8, exec_lo
	s_delay_alu instid0(VALU_DEP_2)
	v_cmpx_gt_u64_e32 0x43e00001, v[64:65]
	s_xor_b32 s19, exec_lo, s8
	s_cbranch_execz .LBB4_173
; %bb.164:                              ;   in Loop: Header=BB4_80 Depth=2
	v_mov_b32_e32 v42, 0
	s_mov_b32 s20, exec_lo
	v_cmpx_ne_u32_e32 0, v4
	s_cbranch_execz .LBB4_172
; %bb.165:                              ;   in Loop: Header=BB4_80 Depth=2
	v_bfe_u32 v42, v4, 23, 8
	v_and_b32_e32 v64, 0x7fffff, v4
	s_delay_alu instid0(VALU_DEP_2) | instskip(NEXT) | instid1(VALU_DEP_2)
	v_cmp_gt_u32_e32 vcc_lo, 0x7a, v42
	v_or_b32_e32 v116, 0x800000, v64
	v_sub_nc_u32_e32 v5, 0x79, v42
	s_delay_alu instid0(VALU_DEP_1) | instskip(SKIP_1) | instid1(VALU_DEP_2)
	v_cndmask_b32_e32 v5, 0, v5, vcc_lo
	v_cmp_eq_u32_e32 vcc_lo, 0, v42
	v_cndmask_b32_e64 v46, v5, 0x78, vcc_lo
	s_delay_alu instid0(VALU_DEP_1) | instskip(SKIP_1) | instid1(VALU_DEP_2)
	v_dual_cndmask_b32 v64, v116, v64, vcc_lo :: v_dual_add_nc_u32 v4, 20, v46
	v_add_nc_u32_e32 v117, 19, v46
	v_lshlrev_b64_e64 v[4:5], v4, -1
	s_delay_alu instid0(VALU_DEP_2) | instskip(NEXT) | instid1(VALU_DEP_2)
	v_lshlrev_b64_e64 v[116:117], v117, 1
	v_bfi_b32 v61, v5, 0, 0
	s_delay_alu instid0(VALU_DEP_3) | instskip(SKIP_1) | instid1(VALU_DEP_2)
	v_bfi_b32 v60, v4, 0, v64
	v_lshrrev_b64 v[4:5], v46, v[64:65]
	v_cmp_eq_u64_e64 s8, v[60:61], v[116:117]
	s_delay_alu instid0(VALU_DEP_2)
	v_mov_b64_e32 v[116:117], v[4:5]
	s_and_saveexec_b32 s21, s8
; %bb.166:                              ;   in Loop: Header=BB4_80 Depth=2
	v_bfe_u32 v64, v4, 20, 1
	s_delay_alu instid0(VALU_DEP_1) | instskip(NEXT) | instid1(VALU_DEP_1)
	v_add_nc_u64_e32 v[116:117], v[4:5], v[64:65]
	v_add_nc_u64_e32 v[116:117], -1, v[116:117]
; %bb.167:                              ;   in Loop: Header=BB4_80 Depth=2
	s_or_b32 exec_lo, exec_lo, s21
	v_add_nc_u32_e32 v5, 0xffffff81, v42
	v_lshrrev_b32_e32 v64, 23, v4
	s_mov_b32 s8, exec_lo
	s_delay_alu instid0(VALU_DEP_2) | instskip(NEXT) | instid1(VALU_DEP_1)
	v_cndmask_b32_e64 v5, v5, 0xffffff82, vcc_lo
	v_add3_u32 v117, v46, v5, v64
	v_and_b32_e32 v5, 0xfffff, v116
                                        ; implicit-def: $vgpr116
	s_delay_alu instid0(VALU_DEP_1) | instskip(NEXT) | instid1(VALU_DEP_1)
	v_dual_add_nc_u32 v42, 6, v117 :: v_dual_add_nc_u32 v64, v5, v4
                                        ; implicit-def: $vgpr4_vgpr5
	v_cmpx_ne_u32_e32 0, v42
	s_xor_b32 s8, exec_lo, s8
; %bb.168:                              ;   in Loop: Header=BB4_80 Depth=2
	s_delay_alu instid0(VALU_DEP_2) | instskip(SKIP_1) | instid1(VALU_DEP_1)
	v_cmp_lt_u64_e32 vcc_lo, 0xffffff, v[64:65]
	v_add_nc_u32_e32 v4, 7, v117
	v_cndmask_b32_e32 v116, v42, v4, vcc_lo
	v_cndmask_b32_e64 v4, 0, 1, vcc_lo
	s_delay_alu instid0(VALU_DEP_1)
	v_lshrrev_b64 v[4:5], v4, v[64:65]
; %bb.169:                              ;   in Loop: Header=BB4_80 Depth=2
	s_and_not1_saveexec_b32 s8, s8
; %bb.170:                              ;   in Loop: Header=BB4_80 Depth=2
	v_mov_b64_e32 v[4:5], v[64:65]
	v_bfe_u32 v116, v64, 23, 1
; %bb.171:                              ;   in Loop: Header=BB4_80 Depth=2
	s_or_b32 exec_lo, exec_lo, s8
	s_delay_alu instid0(VALU_DEP_2) | instskip(NEXT) | instid1(VALU_DEP_2)
	v_lshrrev_b64 v[4:5], 20, v[4:5]
	v_cmp_gt_i32_e32 vcc_lo, 16, v116
	v_min_i32_e32 v64, 15, v116
	v_cmp_eq_u32_e64 s8, 0, v116
	s_delay_alu instid0(VALU_DEP_2) | instskip(SKIP_1) | instid1(VALU_DEP_2)
	v_dual_cndmask_b32 v5, 0, v5 :: v_dual_lshlrev_b32 v64, 3, v64
	v_cndmask_b32_e32 v4, 7, v4, vcc_lo
	v_and_b32_e32 v64, 0xf8, v64
	s_delay_alu instid0(VALU_DEP_2) | instskip(NEXT) | instid1(VALU_DEP_2)
	v_cmp_eq_u64_e32 vcc_lo, 0, v[4:5]
	v_and_or_b32 v4, v4, 7, v64
	s_and_b32 s8, s8, vcc_lo
	s_delay_alu instid0(VALU_DEP_1) | instid1(SALU_CYCLE_1)
	v_cndmask_b32_e64 v4, v4, 0, s8
	s_delay_alu instid0(VALU_DEP_1)
	v_or_b32_e32 v42, v4, v45
.LBB4_172:                              ;   in Loop: Header=BB4_80 Depth=2
	s_or_b32 exec_lo, exec_lo, s20
                                        ; implicit-def: $vgpr45
.LBB4_173:                              ;   in Loop: Header=BB4_80 Depth=2
	s_and_not1_saveexec_b32 s8, s19
; %bb.174:                              ;   in Loop: Header=BB4_80 Depth=2
	v_or_b32_e32 v42, 0x7e, v45
; %bb.175:                              ;   in Loop: Header=BB4_80 Depth=2
	s_or_b32 exec_lo, exec_lo, s8
                                        ; implicit-def: $vgpr5
.LBB4_176:                              ;   in Loop: Header=BB4_80 Depth=2
	s_and_not1_saveexec_b32 s8, s18
; %bb.177:                              ;   in Loop: Header=BB4_80 Depth=2
	v_or_b32_e32 v42, 0x7f, v5
; %bb.178:                              ;   in Loop: Header=BB4_80 Depth=2
	s_or_b32 exec_lo, exec_lo, s8
	v_alignbit_b32 v64, v43, v44, v118
	v_mov_b32_e32 v4, 0
	s_mov_b32 s8, exec_lo
	s_delay_alu instid0(VALU_DEP_2) | instskip(NEXT) | instid1(VALU_DEP_1)
	v_and_b32_e32 v5, 0xff, v64
	v_cmpx_ne_u16_e32 0, v5
	s_cbranch_execz .LBB4_184
; %bb.179:                              ;   in Loop: Header=BB4_80 Depth=2
	v_bfrev_b32_e32 v4, 1
	s_mov_b32 s18, exec_lo
	v_cmpx_ne_u16_e32 0x80, v5
	s_cbranch_execz .LBB4_183
; %bb.180:                              ;   in Loop: Header=BB4_80 Depth=2
	v_and_b32_e32 v5, 0x7f, v64
	v_mov_b32_e32 v4, 0x7f800001
	s_mov_b32 s19, exec_lo
	s_delay_alu instid0(VALU_DEP_2)
	v_cmpx_ne_u32_e32 0x7f, v5
	s_cbranch_execz .LBB4_182
; %bb.181:                              ;   in Loop: Header=BB4_80 Depth=2
	v_dual_lshrrev_b32 v116, 3, v5 :: v_dual_bitop2_b32 v4, 7, v64 bitop3:0x40
	v_cmp_gt_u32_e32 vcc_lo, 8, v5
	s_delay_alu instid0(VALU_DEP_2) | instskip(NEXT) | instid1(VALU_DEP_1)
	v_clz_i32_u32_e32 v4, v4
	v_min_u32_e32 v4, 32, v4
	s_delay_alu instid0(VALU_DEP_1) | instskip(SKIP_1) | instid1(VALU_DEP_1)
	v_subrev_nc_u32_e32 v117, 28, v4
	v_sub_nc_u32_e32 v4, 29, v4
	v_dual_cndmask_b32 v116, v116, v4, vcc_lo :: v_dual_cndmask_b32 v4, 0, v117, vcc_lo
	s_delay_alu instid0(VALU_DEP_1) | instskip(NEXT) | instid1(VALU_DEP_2)
	v_lshl_add_u32 v116, v116, 23, 0x3c000000
	v_lshlrev_b64_e32 v[4:5], v4, v[64:65]
	v_lshlrev_b32_e32 v5, 24, v64
	s_delay_alu instid0(VALU_DEP_1) | instskip(NEXT) | instid1(VALU_DEP_3)
	v_and_b32_e32 v5, 0x80000000, v5
	v_lshlrev_b32_e32 v4, 20, v4
	s_delay_alu instid0(VALU_DEP_1) | instskip(NEXT) | instid1(VALU_DEP_1)
	v_and_b32_e32 v4, 0x700000, v4
	v_or3_b32 v4, v4, v5, v116
.LBB4_182:                              ;   in Loop: Header=BB4_80 Depth=2
	s_or_b32 exec_lo, exec_lo, s19
.LBB4_183:                              ;   in Loop: Header=BB4_80 Depth=2
	s_delay_alu instid0(SALU_CYCLE_1)
	s_or_b32 exec_lo, exec_lo, s18
.LBB4_184:                              ;   in Loop: Header=BB4_80 Depth=2
	s_delay_alu instid0(SALU_CYCLE_1) | instskip(NEXT) | instid1(VALU_DEP_1)
	s_or_b32 exec_lo, exec_lo, s8
	v_dual_mul_f32 v4, v30, v4 :: v_dual_mov_b32 v117, v65
                                        ; implicit-def: $vgpr43
	s_mov_b32 s8, exec_lo
	s_delay_alu instid0(VALU_DEP_1) | instskip(SKIP_1) | instid1(VALU_DEP_2)
	v_and_b32_e32 v116, 0x7f800000, v4
	v_lshrrev_b32_e32 v5, 24, v4
	v_cmpx_ne_u64_e32 0x7f800000, v[116:117]
	s_xor_b32 s18, exec_lo, s8
	s_cbranch_execz .LBB4_198
; %bb.185:                              ;   in Loop: Header=BB4_80 Depth=2
	v_and_b32_e32 v116, 0x7fffffff, v4
	v_mov_b32_e32 v117, v65
	v_and_b32_e32 v44, 0x80, v5
                                        ; implicit-def: $vgpr43
	s_mov_b32 s8, exec_lo
	s_delay_alu instid0(VALU_DEP_2)
	v_cmpx_gt_u64_e32 0x43e00001, v[116:117]
	s_xor_b32 s19, exec_lo, s8
	s_cbranch_execz .LBB4_195
; %bb.186:                              ;   in Loop: Header=BB4_80 Depth=2
	v_mov_b32_e32 v43, 0
	s_mov_b32 s20, exec_lo
	v_cmpx_ne_u32_e32 0, v4
	s_cbranch_execz .LBB4_194
; %bb.187:                              ;   in Loop: Header=BB4_80 Depth=2
	v_bfe_u32 v43, v4, 23, 8
	v_and_b32_e32 v116, 0x7fffff, v4
	s_mov_b32 s21, exec_lo
	s_delay_alu instid0(VALU_DEP_2) | instskip(NEXT) | instid1(VALU_DEP_2)
	v_cmp_gt_u32_e32 vcc_lo, 0x7a, v43
	v_or_b32_e32 v117, 0x800000, v116
	v_sub_nc_u32_e32 v5, 0x79, v43
	s_delay_alu instid0(VALU_DEP_1) | instskip(SKIP_1) | instid1(VALU_DEP_4)
	v_cndmask_b32_e32 v5, 0, v5, vcc_lo
	v_cmp_eq_u32_e32 vcc_lo, 0, v43
	v_cndmask_b32_e32 v116, v117, v116, vcc_lo
	v_mov_b32_e32 v117, v65
	s_delay_alu instid0(VALU_DEP_4) | instskip(NEXT) | instid1(VALU_DEP_1)
	v_cndmask_b32_e64 v45, v5, 0x78, vcc_lo
	v_dual_add_nc_u32 v4, 20, v45 :: v_dual_add_nc_u32 v46, 19, v45
	s_delay_alu instid0(VALU_DEP_1) | instskip(NEXT) | instid1(VALU_DEP_2)
	v_lshlrev_b64_e64 v[4:5], v4, -1
	v_lshlrev_b64_e64 v[46:47], v46, 1
	s_delay_alu instid0(VALU_DEP_2) | instskip(NEXT) | instid1(VALU_DEP_3)
	v_bfi_b32 v61, v5, 0, 0
	v_bfi_b32 v60, v4, 0, v116
	v_lshrrev_b64 v[4:5], v45, v[116:117]
	s_delay_alu instid0(VALU_DEP_1) | instskip(NEXT) | instid1(VALU_DEP_3)
	v_mov_b64_e32 v[116:117], v[4:5]
	v_cmpx_eq_u64_e64 v[60:61], v[46:47]
; %bb.188:                              ;   in Loop: Header=BB4_80 Depth=2
	v_bfe_u32 v116, v4, 20, 1
	v_mov_b32_e32 v117, v65
	s_delay_alu instid0(VALU_DEP_1) | instskip(NEXT) | instid1(VALU_DEP_1)
	v_add_nc_u64_e32 v[116:117], v[4:5], v[116:117]
	v_add_nc_u64_e32 v[116:117], -1, v[116:117]
; %bb.189:                              ;   in Loop: Header=BB4_80 Depth=2
	s_or_b32 exec_lo, exec_lo, s21
	v_add_nc_u32_e32 v5, 0xffffff81, v43
	v_lshrrev_b32_e32 v117, 23, v4
	s_mov_b32 s8, exec_lo
	s_delay_alu instid0(VALU_DEP_2) | instskip(NEXT) | instid1(VALU_DEP_1)
	v_cndmask_b32_e64 v5, v5, 0xffffff82, vcc_lo
	v_add3_u32 v117, v45, v5, v117
	v_and_b32_e32 v5, 0xfffff, v116
                                        ; implicit-def: $vgpr116
	s_delay_alu instid0(VALU_DEP_1) | instskip(SKIP_1) | instid1(VALU_DEP_2)
	v_dual_add_nc_u32 v43, 6, v117 :: v_dual_add_nc_u32 v4, v5, v4
	v_mov_b32_e32 v5, v65
	v_cmpx_ne_u32_e32 0, v43
	s_xor_b32 s8, exec_lo, s8
; %bb.190:                              ;   in Loop: Header=BB4_80 Depth=2
	s_delay_alu instid0(VALU_DEP_2) | instskip(SKIP_2) | instid1(VALU_DEP_2)
	v_cmp_lt_u64_e32 vcc_lo, 0xffffff, v[4:5]
	v_add_nc_u32_e32 v116, 7, v117
	v_cndmask_b32_e64 v117, 0, 1, vcc_lo
	v_cndmask_b32_e32 v116, v43, v116, vcc_lo
	s_delay_alu instid0(VALU_DEP_2)
	v_lshrrev_b64 v[4:5], v117, v[4:5]
; %bb.191:                              ;   in Loop: Header=BB4_80 Depth=2
	s_and_not1_saveexec_b32 s8, s8
; %bb.192:                              ;   in Loop: Header=BB4_80 Depth=2
	s_delay_alu instid0(VALU_DEP_1)
	v_bfe_u32 v116, v4, 23, 1
; %bb.193:                              ;   in Loop: Header=BB4_80 Depth=2
	s_or_b32 exec_lo, exec_lo, s8
	s_delay_alu instid0(VALU_DEP_2) | instskip(NEXT) | instid1(VALU_DEP_2)
	v_lshrrev_b64 v[4:5], 20, v[4:5]
	v_cmp_gt_i32_e32 vcc_lo, 16, v116
	v_min_i32_e32 v117, 15, v116
	v_cmp_eq_u32_e64 s8, 0, v116
	s_delay_alu instid0(VALU_DEP_4) | instskip(NEXT) | instid1(VALU_DEP_3)
	v_cndmask_b32_e32 v5, 0, v5, vcc_lo
	v_dual_cndmask_b32 v4, 7, v4 :: v_dual_lshlrev_b32 v117, 3, v117
	s_delay_alu instid0(VALU_DEP_1) | instskip(NEXT) | instid1(VALU_DEP_2)
	v_and_b32_e32 v117, 0xf8, v117
	v_cmp_eq_u64_e32 vcc_lo, 0, v[4:5]
	s_delay_alu instid0(VALU_DEP_2)
	v_and_or_b32 v4, v4, 7, v117
	s_and_b32 s8, s8, vcc_lo
	s_delay_alu instid0(VALU_DEP_1) | instid1(SALU_CYCLE_1)
	v_cndmask_b32_e64 v4, v4, 0, s8
	s_delay_alu instid0(VALU_DEP_1)
	v_or_b32_e32 v43, v4, v44
.LBB4_194:                              ;   in Loop: Header=BB4_80 Depth=2
	s_or_b32 exec_lo, exec_lo, s20
                                        ; implicit-def: $vgpr44
.LBB4_195:                              ;   in Loop: Header=BB4_80 Depth=2
	s_and_not1_saveexec_b32 s8, s19
; %bb.196:                              ;   in Loop: Header=BB4_80 Depth=2
	v_or_b32_e32 v43, 0x7e, v44
; %bb.197:                              ;   in Loop: Header=BB4_80 Depth=2
	s_or_b32 exec_lo, exec_lo, s8
                                        ; implicit-def: $vgpr5
.LBB4_198:                              ;   in Loop: Header=BB4_80 Depth=2
	s_and_not1_saveexec_b32 s8, s18
; %bb.199:                              ;   in Loop: Header=BB4_80 Depth=2
	v_or_b32_e32 v43, 0x7f, v5
; %bb.200:                              ;   in Loop: Header=BB4_80 Depth=2
	s_or_b32 exec_lo, exec_lo, s8
	v_lshrrev_b16 v5, 8, v64
	v_mov_b32_e32 v4, 0
	s_mov_b32 s8, exec_lo
	s_delay_alu instid0(VALU_DEP_2)
	v_cmpx_ne_u16_e32 0, v5
	s_cbranch_execz .LBB4_208
; %bb.201:                              ;   in Loop: Header=BB4_80 Depth=2
	v_bfrev_b32_e32 v4, 1
	s_mov_b32 s18, exec_lo
	v_cmpx_ne_u16_e32 0x80, v5
	s_cbranch_execz .LBB4_207
; %bb.202:                              ;   in Loop: Header=BB4_80 Depth=2
	v_and_b32_e32 v5, 0xffff, v5
	v_mov_b32_e32 v4, 0x7f800001
	s_mov_b32 s19, exec_lo
	s_delay_alu instid0(VALU_DEP_2) | instskip(NEXT) | instid1(VALU_DEP_1)
	v_and_b32_e32 v117, 0x7f, v5
	v_cmpx_ne_u32_e32 0x7f, v117
	s_cbranch_execz .LBB4_206
; %bb.203:                              ;   in Loop: Header=BB4_80 Depth=2
	v_dual_mov_b32 v5, v65 :: v_dual_bitop2_b32 v4, 7, v5 bitop3:0x40
	v_lshrrev_b32_e32 v116, 3, v117
	s_mov_b32 s20, exec_lo
	v_cmpx_gt_u32_e32 8, v117
; %bb.204:                              ;   in Loop: Header=BB4_80 Depth=2
	s_delay_alu instid0(VALU_DEP_3) | instskip(NEXT) | instid1(VALU_DEP_1)
	v_clz_i32_u32_e32 v116, v4
	v_min_u32_e32 v116, 32, v116
	s_delay_alu instid0(VALU_DEP_1) | instskip(SKIP_1) | instid1(VALU_DEP_2)
	v_subrev_nc_u32_e32 v117, 28, v116
	v_sub_nc_u32_e32 v116, 29, v116
	v_lshlrev_b64_e32 v[4:5], v117, v[4:5]
	s_delay_alu instid0(VALU_DEP_1)
	v_and_b32_e32 v4, 7, v4
; %bb.205:                              ;   in Loop: Header=BB4_80 Depth=2
	s_or_b32 exec_lo, exec_lo, s20
	v_lshlrev_b32_e32 v5, 16, v64
	s_delay_alu instid0(VALU_DEP_2) | instskip(SKIP_1) | instid1(VALU_DEP_3)
	v_lshlrev_b32_e32 v4, 20, v4
	v_lshl_add_u32 v116, v116, 23, 0x3c000000
	v_and_b32_e32 v5, 0x80000000, v5
	s_delay_alu instid0(VALU_DEP_1)
	v_or3_b32 v4, v4, v5, v116
.LBB4_206:                              ;   in Loop: Header=BB4_80 Depth=2
	s_or_b32 exec_lo, exec_lo, s19
.LBB4_207:                              ;   in Loop: Header=BB4_80 Depth=2
	s_delay_alu instid0(SALU_CYCLE_1)
	s_or_b32 exec_lo, exec_lo, s18
.LBB4_208:                              ;   in Loop: Header=BB4_80 Depth=2
	s_delay_alu instid0(SALU_CYCLE_1) | instskip(NEXT) | instid1(VALU_DEP_1)
	s_or_b32 exec_lo, exec_lo, s8
	v_dual_mul_f32 v4, v30, v4 :: v_dual_mov_b32 v117, v65
                                        ; implicit-def: $vgpr44
	s_mov_b32 s8, exec_lo
	s_delay_alu instid0(VALU_DEP_1) | instskip(SKIP_1) | instid1(VALU_DEP_2)
	v_and_b32_e32 v116, 0x7f800000, v4
	v_lshrrev_b32_e32 v5, 24, v4
	v_cmpx_ne_u64_e32 0x7f800000, v[116:117]
	s_xor_b32 s18, exec_lo, s8
	s_cbranch_execz .LBB4_222
; %bb.209:                              ;   in Loop: Header=BB4_80 Depth=2
	v_and_b32_e32 v116, 0x7fffffff, v4
	v_mov_b32_e32 v117, v65
	v_and_b32_e32 v45, 0x80, v5
                                        ; implicit-def: $vgpr44
	s_mov_b32 s8, exec_lo
	s_delay_alu instid0(VALU_DEP_2)
	v_cmpx_gt_u64_e32 0x43e00001, v[116:117]
	s_xor_b32 s19, exec_lo, s8
	s_cbranch_execz .LBB4_219
; %bb.210:                              ;   in Loop: Header=BB4_80 Depth=2
	v_mov_b32_e32 v44, 0
	s_mov_b32 s20, exec_lo
	v_cmpx_ne_u32_e32 0, v4
	s_cbranch_execz .LBB4_218
; %bb.211:                              ;   in Loop: Header=BB4_80 Depth=2
	v_bfe_u32 v44, v4, 23, 8
	v_and_b32_e32 v116, 0x7fffff, v4
	s_mov_b32 s21, exec_lo
	s_delay_alu instid0(VALU_DEP_2) | instskip(SKIP_1) | instid1(VALU_DEP_3)
	v_sub_nc_u32_e32 v5, 0x79, v44
	v_cmp_gt_u32_e32 vcc_lo, 0x7a, v44
	v_or_b32_e32 v117, 0x800000, v116
	s_delay_alu instid0(VALU_DEP_3) | instskip(SKIP_1) | instid1(VALU_DEP_2)
	v_cndmask_b32_e32 v5, 0, v5, vcc_lo
	v_cmp_eq_u32_e32 vcc_lo, 0, v44
	v_cndmask_b32_e64 v46, v5, 0x78, vcc_lo
	s_delay_alu instid0(VALU_DEP_4) | instskip(NEXT) | instid1(VALU_DEP_2)
	v_cndmask_b32_e32 v116, v117, v116, vcc_lo
	v_dual_mov_b32 v117, v65 :: v_dual_add_nc_u32 v4, 20, v46
	v_add_nc_u32_e32 v47, 19, v46
	s_delay_alu instid0(VALU_DEP_2) | instskip(NEXT) | instid1(VALU_DEP_2)
	v_lshlrev_b64_e64 v[4:5], v4, -1
	v_lshlrev_b64_e64 v[60:61], v47, 1
	s_delay_alu instid0(VALU_DEP_2) | instskip(NEXT) | instid1(VALU_DEP_3)
	v_bfi_b32 v63, v5, 0, 0
	v_bfi_b32 v62, v4, 0, v116
	v_lshrrev_b64 v[4:5], v46, v[116:117]
	s_delay_alu instid0(VALU_DEP_1) | instskip(NEXT) | instid1(VALU_DEP_3)
	v_mov_b64_e32 v[116:117], v[4:5]
	v_cmpx_eq_u64_e64 v[62:63], v[60:61]
; %bb.212:                              ;   in Loop: Header=BB4_80 Depth=2
	v_bfe_u32 v116, v4, 20, 1
	v_mov_b32_e32 v117, v65
	s_delay_alu instid0(VALU_DEP_1) | instskip(NEXT) | instid1(VALU_DEP_1)
	v_add_nc_u64_e32 v[116:117], v[4:5], v[116:117]
	v_add_nc_u64_e32 v[116:117], -1, v[116:117]
; %bb.213:                              ;   in Loop: Header=BB4_80 Depth=2
	s_or_b32 exec_lo, exec_lo, s21
	v_add_nc_u32_e32 v5, 0xffffff81, v44
	v_lshrrev_b32_e32 v117, 23, v4
	s_mov_b32 s8, exec_lo
	s_delay_alu instid0(VALU_DEP_2) | instskip(NEXT) | instid1(VALU_DEP_1)
	v_cndmask_b32_e64 v5, v5, 0xffffff82, vcc_lo
	v_add3_u32 v117, v46, v5, v117
	v_and_b32_e32 v5, 0xfffff, v116
                                        ; implicit-def: $vgpr116
	s_delay_alu instid0(VALU_DEP_1) | instskip(SKIP_1) | instid1(VALU_DEP_2)
	v_dual_add_nc_u32 v44, 6, v117 :: v_dual_add_nc_u32 v4, v5, v4
	v_mov_b32_e32 v5, v65
	v_cmpx_ne_u32_e32 0, v44
	s_xor_b32 s8, exec_lo, s8
; %bb.214:                              ;   in Loop: Header=BB4_80 Depth=2
	s_delay_alu instid0(VALU_DEP_2) | instskip(SKIP_2) | instid1(VALU_DEP_2)
	v_cmp_lt_u64_e32 vcc_lo, 0xffffff, v[4:5]
	v_add_nc_u32_e32 v116, 7, v117
	v_cndmask_b32_e64 v117, 0, 1, vcc_lo
	v_cndmask_b32_e32 v116, v44, v116, vcc_lo
	s_delay_alu instid0(VALU_DEP_2)
	v_lshrrev_b64 v[4:5], v117, v[4:5]
; %bb.215:                              ;   in Loop: Header=BB4_80 Depth=2
	s_and_not1_saveexec_b32 s8, s8
; %bb.216:                              ;   in Loop: Header=BB4_80 Depth=2
	s_delay_alu instid0(VALU_DEP_1)
	v_bfe_u32 v116, v4, 23, 1
; %bb.217:                              ;   in Loop: Header=BB4_80 Depth=2
	s_or_b32 exec_lo, exec_lo, s8
	s_delay_alu instid0(VALU_DEP_2) | instskip(NEXT) | instid1(VALU_DEP_2)
	v_lshrrev_b64 v[4:5], 20, v[4:5]
	v_cmp_gt_i32_e32 vcc_lo, 16, v116
	v_min_i32_e32 v117, 15, v116
	v_cmp_eq_u32_e64 s8, 0, v116
	s_delay_alu instid0(VALU_DEP_4) | instskip(NEXT) | instid1(VALU_DEP_3)
	v_cndmask_b32_e32 v5, 0, v5, vcc_lo
	v_dual_cndmask_b32 v4, 7, v4 :: v_dual_lshlrev_b32 v117, 3, v117
	s_delay_alu instid0(VALU_DEP_1) | instskip(NEXT) | instid1(VALU_DEP_2)
	v_and_b32_e32 v117, 0xf8, v117
	v_cmp_eq_u64_e32 vcc_lo, 0, v[4:5]
	s_delay_alu instid0(VALU_DEP_2)
	v_and_or_b32 v4, v4, 7, v117
	s_and_b32 s8, s8, vcc_lo
	s_delay_alu instid0(VALU_DEP_1) | instid1(SALU_CYCLE_1)
	v_cndmask_b32_e64 v4, v4, 0, s8
	s_delay_alu instid0(VALU_DEP_1)
	v_or_b32_e32 v44, v4, v45
.LBB4_218:                              ;   in Loop: Header=BB4_80 Depth=2
	s_or_b32 exec_lo, exec_lo, s20
                                        ; implicit-def: $vgpr45
.LBB4_219:                              ;   in Loop: Header=BB4_80 Depth=2
	s_and_not1_saveexec_b32 s8, s19
; %bb.220:                              ;   in Loop: Header=BB4_80 Depth=2
	v_or_b32_e32 v44, 0x7e, v45
; %bb.221:                              ;   in Loop: Header=BB4_80 Depth=2
	s_or_b32 exec_lo, exec_lo, s8
                                        ; implicit-def: $vgpr5
.LBB4_222:                              ;   in Loop: Header=BB4_80 Depth=2
	s_and_not1_saveexec_b32 s8, s18
; %bb.223:                              ;   in Loop: Header=BB4_80 Depth=2
	v_or_b32_e32 v44, 0x7f, v5
; %bb.224:                              ;   in Loop: Header=BB4_80 Depth=2
	s_or_b32 exec_lo, exec_lo, s8
	v_dual_lshrrev_b32 v116, 16, v64 :: v_dual_mov_b32 v4, 0
	s_mov_b32 s8, exec_lo
	s_delay_alu instid0(VALU_DEP_1) | instskip(NEXT) | instid1(VALU_DEP_1)
	v_and_b32_e32 v5, 0xff, v116
	v_cmpx_ne_u16_e32 0, v5
	s_cbranch_execz .LBB4_232
; %bb.225:                              ;   in Loop: Header=BB4_80 Depth=2
	v_bfrev_b32_e32 v4, 1
	s_mov_b32 s18, exec_lo
	v_cmpx_ne_u16_e32 0x80, v5
	s_cbranch_execz .LBB4_231
; %bb.226:                              ;   in Loop: Header=BB4_80 Depth=2
	v_bfe_u32 v45, v64, 16, 7
	v_mov_b32_e32 v4, 0x7f800001
	s_mov_b32 s19, exec_lo
	s_delay_alu instid0(VALU_DEP_2)
	v_cmpx_ne_u32_e32 0x7f, v45
	s_cbranch_execz .LBB4_230
; %bb.227:                              ;   in Loop: Header=BB4_80 Depth=2
	v_dual_mov_b32 v5, v65 :: v_dual_bitop2_b32 v4, 7, v116 bitop3:0x40
	v_lshrrev_b32_e32 v117, 3, v45
	s_mov_b32 s20, exec_lo
	v_cmpx_gt_u32_e32 8, v45
; %bb.228:                              ;   in Loop: Header=BB4_80 Depth=2
	s_delay_alu instid0(VALU_DEP_3) | instskip(NEXT) | instid1(VALU_DEP_1)
	v_clz_i32_u32_e32 v117, v4
	v_min_u32_e32 v117, 32, v117
	s_delay_alu instid0(VALU_DEP_1) | instskip(NEXT) | instid1(VALU_DEP_1)
	v_subrev_nc_u32_e32 v45, 28, v117
	v_lshlrev_b64_e32 v[4:5], v45, v[4:5]
	s_delay_alu instid0(VALU_DEP_1)
	v_dual_sub_nc_u32 v117, 29, v117 :: v_dual_bitop2_b32 v4, 7, v4 bitop3:0x40
; %bb.229:                              ;   in Loop: Header=BB4_80 Depth=2
	s_or_b32 exec_lo, exec_lo, s20
	v_lshlrev_b32_e32 v5, 24, v116
	s_delay_alu instid0(VALU_DEP_2) | instskip(NEXT) | instid1(VALU_DEP_3)
	v_lshlrev_b32_e32 v4, 20, v4
	v_lshl_add_u32 v116, v117, 23, 0x3c000000
	s_delay_alu instid0(VALU_DEP_3) | instskip(NEXT) | instid1(VALU_DEP_1)
	v_and_b32_e32 v5, 0x80000000, v5
	v_or3_b32 v4, v4, v5, v116
.LBB4_230:                              ;   in Loop: Header=BB4_80 Depth=2
	s_or_b32 exec_lo, exec_lo, s19
.LBB4_231:                              ;   in Loop: Header=BB4_80 Depth=2
	s_delay_alu instid0(SALU_CYCLE_1)
	s_or_b32 exec_lo, exec_lo, s18
.LBB4_232:                              ;   in Loop: Header=BB4_80 Depth=2
	s_delay_alu instid0(SALU_CYCLE_1) | instskip(NEXT) | instid1(VALU_DEP_1)
	s_or_b32 exec_lo, exec_lo, s8
	v_dual_mul_f32 v4, v30, v4 :: v_dual_mov_b32 v117, v65
                                        ; implicit-def: $vgpr45
	s_mov_b32 s8, exec_lo
	s_delay_alu instid0(VALU_DEP_1) | instskip(SKIP_1) | instid1(VALU_DEP_2)
	v_and_b32_e32 v116, 0x7f800000, v4
	v_lshrrev_b32_e32 v5, 24, v4
	v_cmpx_ne_u64_e32 0x7f800000, v[116:117]
	s_xor_b32 s18, exec_lo, s8
	s_cbranch_execz .LBB4_246
; %bb.233:                              ;   in Loop: Header=BB4_80 Depth=2
	v_and_b32_e32 v116, 0x7fffffff, v4
	v_mov_b32_e32 v117, v65
	v_and_b32_e32 v46, 0x80, v5
                                        ; implicit-def: $vgpr45
	s_mov_b32 s8, exec_lo
	s_delay_alu instid0(VALU_DEP_2)
	v_cmpx_gt_u64_e32 0x43e00001, v[116:117]
	s_xor_b32 s19, exec_lo, s8
	s_cbranch_execz .LBB4_243
; %bb.234:                              ;   in Loop: Header=BB4_80 Depth=2
	v_mov_b32_e32 v45, 0
	s_mov_b32 s20, exec_lo
	v_cmpx_ne_u32_e32 0, v4
	s_cbranch_execz .LBB4_242
; %bb.235:                              ;   in Loop: Header=BB4_80 Depth=2
	v_bfe_u32 v45, v4, 23, 8
	v_and_b32_e32 v116, 0x7fffff, v4
	s_mov_b32 s21, exec_lo
	s_delay_alu instid0(VALU_DEP_2) | instskip(NEXT) | instid1(VALU_DEP_2)
	v_cmp_gt_u32_e32 vcc_lo, 0x7a, v45
	v_or_b32_e32 v117, 0x800000, v116
	v_sub_nc_u32_e32 v5, 0x79, v45
	s_delay_alu instid0(VALU_DEP_1) | instskip(SKIP_1) | instid1(VALU_DEP_2)
	v_cndmask_b32_e32 v5, 0, v5, vcc_lo
	v_cmp_eq_u32_e32 vcc_lo, 0, v45
	v_cndmask_b32_e64 v47, v5, 0x78, vcc_lo
	v_cndmask_b32_e32 v116, v117, v116, vcc_lo
	s_delay_alu instid0(VALU_DEP_2) | instskip(SKIP_1) | instid1(VALU_DEP_2)
	v_dual_mov_b32 v117, v65 :: v_dual_add_nc_u32 v60, 19, v47
	v_add_nc_u32_e32 v4, 20, v47
	v_lshlrev_b64_e64 v[60:61], v60, 1
	s_delay_alu instid0(VALU_DEP_2) | instskip(NEXT) | instid1(VALU_DEP_1)
	v_lshlrev_b64_e64 v[4:5], v4, -1
	v_bfi_b32 v63, v5, 0, 0
	s_delay_alu instid0(VALU_DEP_2) | instskip(SKIP_1) | instid1(VALU_DEP_1)
	v_bfi_b32 v62, v4, 0, v116
	v_lshrrev_b64 v[4:5], v47, v[116:117]
	v_mov_b64_e32 v[116:117], v[4:5]
	s_delay_alu instid0(VALU_DEP_3)
	v_cmpx_eq_u64_e64 v[62:63], v[60:61]
; %bb.236:                              ;   in Loop: Header=BB4_80 Depth=2
	v_bfe_u32 v116, v4, 20, 1
	v_mov_b32_e32 v117, v65
	s_delay_alu instid0(VALU_DEP_1) | instskip(NEXT) | instid1(VALU_DEP_1)
	v_add_nc_u64_e32 v[116:117], v[4:5], v[116:117]
	v_add_nc_u64_e32 v[116:117], -1, v[116:117]
; %bb.237:                              ;   in Loop: Header=BB4_80 Depth=2
	s_or_b32 exec_lo, exec_lo, s21
	v_add_nc_u32_e32 v5, 0xffffff81, v45
	v_lshrrev_b32_e32 v117, 23, v4
	s_mov_b32 s8, exec_lo
	s_delay_alu instid0(VALU_DEP_2) | instskip(NEXT) | instid1(VALU_DEP_1)
	v_cndmask_b32_e64 v5, v5, 0xffffff82, vcc_lo
	v_add3_u32 v117, v47, v5, v117
	v_and_b32_e32 v5, 0xfffff, v116
                                        ; implicit-def: $vgpr116
	s_delay_alu instid0(VALU_DEP_1) | instskip(SKIP_1) | instid1(VALU_DEP_2)
	v_dual_add_nc_u32 v45, 6, v117 :: v_dual_add_nc_u32 v4, v5, v4
	v_mov_b32_e32 v5, v65
	v_cmpx_ne_u32_e32 0, v45
	s_xor_b32 s8, exec_lo, s8
; %bb.238:                              ;   in Loop: Header=BB4_80 Depth=2
	s_delay_alu instid0(VALU_DEP_2) | instskip(SKIP_2) | instid1(VALU_DEP_2)
	v_cmp_lt_u64_e32 vcc_lo, 0xffffff, v[4:5]
	v_add_nc_u32_e32 v116, 7, v117
	v_cndmask_b32_e64 v117, 0, 1, vcc_lo
	v_cndmask_b32_e32 v116, v45, v116, vcc_lo
	s_delay_alu instid0(VALU_DEP_2)
	v_lshrrev_b64 v[4:5], v117, v[4:5]
; %bb.239:                              ;   in Loop: Header=BB4_80 Depth=2
	s_and_not1_saveexec_b32 s8, s8
; %bb.240:                              ;   in Loop: Header=BB4_80 Depth=2
	s_delay_alu instid0(VALU_DEP_1)
	v_bfe_u32 v116, v4, 23, 1
; %bb.241:                              ;   in Loop: Header=BB4_80 Depth=2
	s_or_b32 exec_lo, exec_lo, s8
	s_delay_alu instid0(VALU_DEP_2) | instskip(NEXT) | instid1(VALU_DEP_2)
	v_lshrrev_b64 v[4:5], 20, v[4:5]
	v_cmp_gt_i32_e32 vcc_lo, 16, v116
	v_min_i32_e32 v117, 15, v116
	v_cmp_eq_u32_e64 s8, 0, v116
	s_delay_alu instid0(VALU_DEP_4) | instskip(NEXT) | instid1(VALU_DEP_3)
	v_cndmask_b32_e32 v5, 0, v5, vcc_lo
	v_dual_cndmask_b32 v4, 7, v4 :: v_dual_lshlrev_b32 v117, 3, v117
	s_delay_alu instid0(VALU_DEP_1) | instskip(NEXT) | instid1(VALU_DEP_2)
	v_and_b32_e32 v117, 0xf8, v117
	v_cmp_eq_u64_e32 vcc_lo, 0, v[4:5]
	s_delay_alu instid0(VALU_DEP_2)
	v_and_or_b32 v4, v4, 7, v117
	s_and_b32 s8, s8, vcc_lo
	s_delay_alu instid0(VALU_DEP_1) | instid1(SALU_CYCLE_1)
	v_cndmask_b32_e64 v4, v4, 0, s8
	s_delay_alu instid0(VALU_DEP_1)
	v_or_b32_e32 v45, v4, v46
.LBB4_242:                              ;   in Loop: Header=BB4_80 Depth=2
	s_or_b32 exec_lo, exec_lo, s20
                                        ; implicit-def: $vgpr46
.LBB4_243:                              ;   in Loop: Header=BB4_80 Depth=2
	s_and_not1_saveexec_b32 s8, s19
; %bb.244:                              ;   in Loop: Header=BB4_80 Depth=2
	v_or_b32_e32 v45, 0x7e, v46
; %bb.245:                              ;   in Loop: Header=BB4_80 Depth=2
	s_or_b32 exec_lo, exec_lo, s8
                                        ; implicit-def: $vgpr5
.LBB4_246:                              ;   in Loop: Header=BB4_80 Depth=2
	s_and_not1_saveexec_b32 s8, s18
; %bb.247:                              ;   in Loop: Header=BB4_80 Depth=2
	v_or_b32_e32 v45, 0x7f, v5
; %bb.248:                              ;   in Loop: Header=BB4_80 Depth=2
	s_or_b32 exec_lo, exec_lo, s8
	v_mov_b32_e32 v5, 0
	s_mov_b32 s8, exec_lo
	v_cmpx_lt_u32_e32 0xffffff, v64
	s_cbranch_execz .LBB4_256
; %bb.249:                              ;   in Loop: Header=BB4_80 Depth=2
	v_lshrrev_b32_e32 v4, 24, v64
	v_bfrev_b32_e32 v5, 1
	s_mov_b32 s18, exec_lo
	s_delay_alu instid0(VALU_DEP_2)
	v_cmpx_ne_u32_e32 0x80, v4
	s_cbranch_execz .LBB4_255
; %bb.250:                              ;   in Loop: Header=BB4_80 Depth=2
	v_bfe_u32 v116, v64, 24, 7
	v_mov_b32_e32 v5, 0x7f800001
	s_mov_b32 s19, exec_lo
	s_delay_alu instid0(VALU_DEP_2)
	v_cmpx_ne_u32_e32 0x7f, v116
	s_cbranch_execz .LBB4_254
; %bb.251:                              ;   in Loop: Header=BB4_80 Depth=2
	v_and_b32_e32 v64, 7, v4
	v_lshrrev_b32_e32 v5, 3, v116
	s_mov_b32 s20, exec_lo
	v_cmpx_gt_u32_e32 8, v116
; %bb.252:                              ;   in Loop: Header=BB4_80 Depth=2
	s_delay_alu instid0(VALU_DEP_3) | instskip(NEXT) | instid1(VALU_DEP_1)
	v_clz_i32_u32_e32 v5, v64
	v_min_u32_e32 v5, 32, v5
	s_delay_alu instid0(VALU_DEP_1) | instskip(NEXT) | instid1(VALU_DEP_1)
	v_subrev_nc_u32_e32 v116, 28, v5
	v_lshlrev_b64_e32 v[116:117], v116, v[64:65]
	s_delay_alu instid0(VALU_DEP_1)
	v_dual_sub_nc_u32 v5, 29, v5 :: v_dual_bitop2_b32 v64, 7, v116 bitop3:0x40
; %bb.253:                              ;   in Loop: Header=BB4_80 Depth=2
	s_or_b32 exec_lo, exec_lo, s20
	v_lshlrev_b32_e32 v4, 24, v4
	s_delay_alu instid0(VALU_DEP_2) | instskip(NEXT) | instid1(VALU_DEP_3)
	v_lshlrev_b32_e32 v64, 20, v64
	v_lshl_add_u32 v5, v5, 23, 0x3c000000
	s_delay_alu instid0(VALU_DEP_3) | instskip(NEXT) | instid1(VALU_DEP_1)
	v_and_b32_e32 v4, 0x80000000, v4
	v_or3_b32 v5, v64, v4, v5
.LBB4_254:                              ;   in Loop: Header=BB4_80 Depth=2
	s_or_b32 exec_lo, exec_lo, s19
.LBB4_255:                              ;   in Loop: Header=BB4_80 Depth=2
	s_delay_alu instid0(SALU_CYCLE_1)
	s_or_b32 exec_lo, exec_lo, s18
.LBB4_256:                              ;   in Loop: Header=BB4_80 Depth=2
	s_delay_alu instid0(SALU_CYCLE_1) | instskip(NEXT) | instid1(VALU_DEP_1)
	s_or_b32 exec_lo, exec_lo, s8
	v_mul_f32_e32 v5, v30, v5
                                        ; implicit-def: $vgpr4
	s_mov_b32 s8, exec_lo
	s_delay_alu instid0(VALU_DEP_1) | instskip(SKIP_1) | instid1(VALU_DEP_2)
	v_and_b32_e32 v64, 0x7f800000, v5
	v_lshrrev_b32_e32 v116, 24, v5
	v_cmpx_ne_u64_e32 0x7f800000, v[64:65]
	s_xor_b32 s18, exec_lo, s8
	s_cbranch_execz .LBB4_270
; %bb.257:                              ;   in Loop: Header=BB4_80 Depth=2
	v_and_b32_e32 v64, 0x7fffffff, v5
	v_and_b32_e32 v46, 0x80, v116
                                        ; implicit-def: $vgpr4
	s_mov_b32 s8, exec_lo
	s_delay_alu instid0(VALU_DEP_2)
	v_cmpx_gt_u64_e32 0x43e00001, v[64:65]
	s_xor_b32 s19, exec_lo, s8
	s_cbranch_execz .LBB4_267
; %bb.258:                              ;   in Loop: Header=BB4_80 Depth=2
	v_mov_b32_e32 v4, 0
	s_mov_b32 s20, exec_lo
	v_cmpx_ne_u32_e32 0, v5
	s_cbranch_execz .LBB4_266
; %bb.259:                              ;   in Loop: Header=BB4_80 Depth=2
	v_bfe_u32 v47, v5, 23, 8
	v_and_b32_e32 v64, 0x7fffff, v5
	s_delay_alu instid0(VALU_DEP_2) | instskip(SKIP_1) | instid1(VALU_DEP_3)
	v_sub_nc_u32_e32 v4, 0x79, v47
	v_cmp_gt_u32_e32 vcc_lo, 0x7a, v47
	v_or_b32_e32 v116, 0x800000, v64
	s_delay_alu instid0(VALU_DEP_3) | instskip(SKIP_1) | instid1(VALU_DEP_2)
	v_cndmask_b32_e32 v4, 0, v4, vcc_lo
	v_cmp_eq_u32_e32 vcc_lo, 0, v47
	v_cndmask_b32_e64 v60, v4, 0x78, vcc_lo
	s_delay_alu instid0(VALU_DEP_4) | instskip(NEXT) | instid1(VALU_DEP_2)
	v_cndmask_b32_e32 v64, v116, v64, vcc_lo
	v_dual_add_nc_u32 v4, 20, v60 :: v_dual_add_nc_u32 v117, 19, v60
	s_delay_alu instid0(VALU_DEP_1) | instskip(NEXT) | instid1(VALU_DEP_2)
	v_lshlrev_b64_e64 v[4:5], v4, -1
	v_lshlrev_b64_e64 v[116:117], v117, 1
	s_delay_alu instid0(VALU_DEP_2) | instskip(NEXT) | instid1(VALU_DEP_3)
	v_bfi_b32 v63, v5, 0, 0
	v_bfi_b32 v62, v4, 0, v64
	v_lshrrev_b64 v[4:5], v60, v[64:65]
	s_delay_alu instid0(VALU_DEP_2) | instskip(NEXT) | instid1(VALU_DEP_2)
	v_cmp_eq_u64_e64 s8, v[62:63], v[116:117]
	v_mov_b64_e32 v[116:117], v[4:5]
	s_and_saveexec_b32 s21, s8
; %bb.260:                              ;   in Loop: Header=BB4_80 Depth=2
	v_bfe_u32 v64, v4, 20, 1
	s_delay_alu instid0(VALU_DEP_1) | instskip(NEXT) | instid1(VALU_DEP_1)
	v_add_nc_u64_e32 v[116:117], v[4:5], v[64:65]
	v_add_nc_u64_e32 v[116:117], -1, v[116:117]
; %bb.261:                              ;   in Loop: Header=BB4_80 Depth=2
	s_or_b32 exec_lo, exec_lo, s21
	v_add_nc_u32_e32 v5, 0xffffff81, v47
	v_lshrrev_b32_e32 v64, 23, v4
	s_mov_b32 s8, exec_lo
	s_delay_alu instid0(VALU_DEP_2) | instskip(NEXT) | instid1(VALU_DEP_1)
	v_cndmask_b32_e64 v5, v5, 0xffffff82, vcc_lo
	v_add3_u32 v117, v60, v5, v64
	v_and_b32_e32 v5, 0xfffff, v116
                                        ; implicit-def: $vgpr116
	s_delay_alu instid0(VALU_DEP_1) | instskip(NEXT) | instid1(VALU_DEP_1)
	v_dual_add_nc_u32 v47, 6, v117 :: v_dual_add_nc_u32 v64, v5, v4
                                        ; implicit-def: $vgpr4_vgpr5
	v_cmpx_ne_u32_e32 0, v47
	s_xor_b32 s8, exec_lo, s8
; %bb.262:                              ;   in Loop: Header=BB4_80 Depth=2
	s_delay_alu instid0(VALU_DEP_2) | instskip(SKIP_1) | instid1(VALU_DEP_1)
	v_cmp_lt_u64_e32 vcc_lo, 0xffffff, v[64:65]
	v_add_nc_u32_e32 v4, 7, v117
	v_cndmask_b32_e32 v116, v47, v4, vcc_lo
	v_cndmask_b32_e64 v4, 0, 1, vcc_lo
	s_delay_alu instid0(VALU_DEP_1)
	v_lshrrev_b64 v[4:5], v4, v[64:65]
; %bb.263:                              ;   in Loop: Header=BB4_80 Depth=2
	s_and_not1_saveexec_b32 s8, s8
; %bb.264:                              ;   in Loop: Header=BB4_80 Depth=2
	v_mov_b64_e32 v[4:5], v[64:65]
	v_bfe_u32 v116, v64, 23, 1
; %bb.265:                              ;   in Loop: Header=BB4_80 Depth=2
	s_or_b32 exec_lo, exec_lo, s8
	s_delay_alu instid0(VALU_DEP_2) | instskip(NEXT) | instid1(VALU_DEP_2)
	v_lshrrev_b64 v[4:5], 20, v[4:5]
	v_cmp_gt_i32_e32 vcc_lo, 16, v116
	v_min_i32_e32 v64, 15, v116
	v_cmp_eq_u32_e64 s8, 0, v116
	s_delay_alu instid0(VALU_DEP_2) | instskip(SKIP_1) | instid1(VALU_DEP_2)
	v_dual_cndmask_b32 v5, 0, v5 :: v_dual_lshlrev_b32 v64, 3, v64
	v_cndmask_b32_e32 v4, 7, v4, vcc_lo
	v_and_b32_e32 v64, 0xf8, v64
	s_delay_alu instid0(VALU_DEP_2) | instskip(NEXT) | instid1(VALU_DEP_2)
	v_cmp_eq_u64_e32 vcc_lo, 0, v[4:5]
	v_and_or_b32 v4, v4, 7, v64
	s_and_b32 s8, s8, vcc_lo
	s_delay_alu instid0(VALU_DEP_1) | instid1(SALU_CYCLE_1)
	v_cndmask_b32_e64 v4, v4, 0, s8
	s_delay_alu instid0(VALU_DEP_1)
	v_or_b32_e32 v4, v4, v46
.LBB4_266:                              ;   in Loop: Header=BB4_80 Depth=2
	s_or_b32 exec_lo, exec_lo, s20
                                        ; implicit-def: $vgpr46
.LBB4_267:                              ;   in Loop: Header=BB4_80 Depth=2
	s_and_not1_saveexec_b32 s8, s19
; %bb.268:                              ;   in Loop: Header=BB4_80 Depth=2
	v_or_b32_e32 v4, 0x7e, v46
; %bb.269:                              ;   in Loop: Header=BB4_80 Depth=2
	s_or_b32 exec_lo, exec_lo, s8
                                        ; implicit-def: $vgpr116
.LBB4_270:                              ;   in Loop: Header=BB4_80 Depth=2
	s_and_not1_saveexec_b32 s8, s18
	s_cbranch_execz .LBB4_79
; %bb.271:                              ;   in Loop: Header=BB4_80 Depth=2
	v_or_b32_e32 v4, 0x7f, v116
	s_branch .LBB4_79
.LBB4_272:                              ;   in Loop: Header=BB4_42 Depth=1
	s_or_b32 exec_lo, exec_lo, s17
.LBB4_273:                              ;   in Loop: Header=BB4_42 Depth=1
	s_delay_alu instid0(SALU_CYCLE_1) | instskip(SKIP_2) | instid1(VALU_DEP_2)
	s_or_b32 exec_lo, exec_lo, s16
	v_and_b32_e32 v64, 0x7ffffff8, v16
	v_cmp_gt_i32_e64 s8, s13, v18
	v_cmp_eq_u64_e32 vcc_lo, 0x7ffffff8, v[64:65]
	s_and_b32 s16, vcc_lo, s8
	s_delay_alu instid0(SALU_CYCLE_1)
	s_and_saveexec_b32 s8, s16
	s_cbranch_execz .LBB4_276
; %bb.274:                              ;   in Loop: Header=BB4_42 Depth=1
	v_mul_lo_u32 v4, v19, s13
	v_mov_b32_e32 v2, v65
	s_mov_b32 s16, 0
	s_delay_alu instid0(VALU_DEP_2) | instskip(NEXT) | instid1(VALU_DEP_1)
	v_dual_ashrrev_i32 v19, 31, v18 :: v_dual_ashrrev_i32 v5, 31, v4
	v_lshlrev_b64_e32 v[4:5], 4, v[4:5]
	s_delay_alu instid0(VALU_DEP_1) | instskip(NEXT) | instid1(VALU_DEP_1)
	v_lshl_add_u64 v[4:5], v[18:19], 4, v[4:5]
	v_add_nc_u64_e32 v[112:113], v[36:37], v[4:5]
.LBB4_275:                              ;   Parent Loop BB4_42 Depth=1
                                        ; =>  This Inner Loop Header: Depth=2
	v_dual_mov_b32 v4, v2 :: v_dual_mov_b32 v5, v3
	v_add_nc_u32_e32 v18, v18, v20
	global_store_b128 v[112:113], v[2:5], off
	v_cmp_le_i32_e32 vcc_lo, s13, v18
	s_wait_xcnt 0x0
	v_add_nc_u64_e32 v[112:113], v[112:113], v[102:103]
	s_or_b32 s16, vcc_lo, s16
	s_delay_alu instid0(SALU_CYCLE_1)
	s_and_not1_b32 exec_lo, exec_lo, s16
	s_cbranch_execnz .LBB4_275
.LBB4_276:                              ;   in Loop: Header=BB4_42 Depth=1
	s_or_b32 exec_lo, exec_lo, s8
	v_add_nc_u64_e32 v[112:113], v[80:81], v[24:25]
	s_wait_loadcnt_dscnt 0x0
	v_add_nc_u64_e32 v[114:115], 1, v[16:17]
	s_and_not1_b32 vcc_lo, exec_lo, s15
	s_cbranch_vccnz .LBB4_794
; %bb.277:                              ;   in Loop: Header=BB4_42 Depth=1
	s_delay_alu instid0(VALU_DEP_2)
	v_add_nc_u64_e32 v[116:117], v[96:97], v[112:113]
	v_add_nc_u16 v60, v16, 1
	s_mov_b32 s16, 2
	s_branch .LBB4_279
.LBB4_278:                              ;   in Loop: Header=BB4_279 Depth=2
	s_or_b32 exec_lo, exec_lo, s8
	v_add_nc_u64_e32 v[34:35], 1, v[34:35]
	v_add_nc_u64_e32 v[114:115], 1, v[114:115]
	v_add_nc_u16 v60, v60, 1
	s_add_co_i32 s16, s16, 1
	s_delay_alu instid0(SALU_CYCLE_1)
	s_cmp_eq_u32 s16, s10
	s_cbranch_scc1 .LBB4_794
.LBB4_279:                              ;   Parent Loop BB4_42 Depth=1
                                        ; =>  This Loop Header: Depth=2
                                        ;       Child Loop BB4_284 Depth 3
                                        ;       Child Loop BB4_303 Depth 3
	;; [unrolled: 1-line block ×3, first 2 shown]
                                        ;         Child Loop BB4_331 Depth 4
                                        ;       Child Loop BB4_783 Depth 3
                                        ;       Child Loop BB4_320 Depth 3
	s_sub_co_i32 s8, s10, s16
	v_readfirstlane_b32 s18, v22
	v_mov_b32_e32 v2, s8
	v_readfirstlane_b32 s19, v23
	flat_load_b32 v4, v2, s[18:19] scale_offset
	s_wait_xcnt 0x0
	s_and_saveexec_b32 s17, s1
	s_cbranch_execz .LBB4_295
; %bb.280:                              ;   in Loop: Header=BB4_279 Depth=2
	v_add_nc_u64_e32 v[2:3], 1, v[14:15]
	v_add_nc_u64_e32 v[16:17], 8, v[54:55]
	s_mov_b32 s18, exec_lo
	s_delay_alu instid0(VALU_DEP_1)
	v_cmpx_lt_u64_e64 v[16:17], v[2:3]
	s_cbranch_execz .LBB4_292
; %bb.281:                              ;   in Loop: Header=BB4_279 Depth=2
	s_mov_b32 s19, 0
	s_mov_b32 s23, 0
	v_cmp_eq_u32_e32 vcc_lo, 0, v21
                                        ; implicit-def: $sgpr20
                                        ; implicit-def: $sgpr21
                                        ; implicit-def: $sgpr22
	s_branch .LBB4_284
.LBB4_282:                              ;   in Loop: Header=BB4_284 Depth=3
	s_or_b32 exec_lo, exec_lo, s28
	s_delay_alu instid0(SALU_CYCLE_1)
	s_and_not1_b32 s8, s22, exec_lo
	s_and_b32 s22, s26, exec_lo
	s_and_not1_b32 s21, s21, exec_lo
	s_and_b32 s25, s25, exec_lo
	s_or_b32 s22, s8, s22
	s_or_b32 s21, s21, s25
.LBB4_283:                              ;   in Loop: Header=BB4_284 Depth=3
	s_or_b32 exec_lo, exec_lo, s24
	s_delay_alu instid0(SALU_CYCLE_1) | instskip(NEXT) | instid1(SALU_CYCLE_1)
	s_and_b32 s8, exec_lo, s21
	s_or_b32 s19, s8, s19
	s_and_not1_b32 s8, s20, exec_lo
	s_and_b32 s20, s22, exec_lo
	s_delay_alu instid0(SALU_CYCLE_1)
	s_or_b32 s20, s8, s20
	s_and_not1_b32 exec_lo, exec_lo, s19
	s_cbranch_execz .LBB4_289
.LBB4_284:                              ;   Parent Loop BB4_42 Depth=1
                                        ;     Parent Loop BB4_279 Depth=2
                                        ; =>    This Inner Loop Header: Depth=3
	s_sleep 1
	s_wait_loadcnt_dscnt 0x0
	flat_load_b64 v[54:55], v[50:51] scope:SCOPE_DEV
	v_mov_b32_e32 v21, 1
	s_or_b32 s22, s22, exec_lo
	s_or_b32 s21, s21, exec_lo
                                        ; implicit-def: $vgpr5
	s_wait_xcnt 0x0
	s_and_saveexec_b32 s24, vcc_lo
	s_cbranch_execz .LBB4_283
; %bb.285:                              ;   in Loop: Header=BB4_284 Depth=3
	s_add_co_i32 s23, s23, 1
	s_mov_b32 s25, -1
	s_cmp_lg_u32 s23, 0x2710
	s_mov_b32 s26, -1
	s_cselect_b32 s27, -1, 0
	s_cmp_eq_u32 s23, 0x2710
                                        ; implicit-def: $vgpr5
	s_cbranch_scc1 .LBB4_287
; %bb.286:                              ;   in Loop: Header=BB4_284 Depth=3
	v_mov_b32_e32 v21, 1
	s_and_saveexec_b32 s28, s27
	s_cbranch_execz .LBB4_282
	s_branch .LBB4_288
.LBB4_287:                              ;   in Loop: Header=BB4_284 Depth=3
	s_trap 2
	ds_load_b64 v[16:17], v0
	s_and_not1_b32 s23, s27, exec_lo
	s_mov_b32 s26, 0
	s_wait_storecnt 0x0
	s_wait_loadcnt_dscnt 0x0
	flat_load_b32 v5, v[16:17] scope:SCOPE_SYS
	s_wait_loadcnt_dscnt 0x0
	global_inv scope:SCOPE_SYS
	v_cmp_eq_u32_e64 s8, 0, v5
	s_and_b32 s8, s8, exec_lo
	s_delay_alu instid0(SALU_CYCLE_1)
	s_or_b32 s27, s23, s8
	s_mov_b32 s23, 0
	v_mov_b32_e32 v21, 1
	s_and_saveexec_b32 s28, s27
	s_cbranch_execz .LBB4_282
.LBB4_288:                              ;   in Loop: Header=BB4_284 Depth=3
	s_wait_loadcnt_dscnt 0x0
	v_add_nc_u64_e32 v[16:17], 8, v[54:55]
	v_mov_b32_e32 v21, 0
	s_or_b32 s26, s26, exec_lo
	s_delay_alu instid0(VALU_DEP_2)
	v_cmp_ge_u64_e64 s8, v[16:17], v[2:3]
	s_or_not1_b32 s25, s8, exec_lo
	s_branch .LBB4_282
.LBB4_289:                              ;   in Loop: Header=BB4_279 Depth=2
	s_or_b32 exec_lo, exec_lo, s19
	s_xor_b32 s8, s20, -1
	s_delay_alu instid0(SALU_CYCLE_1) | instskip(NEXT) | instid1(SALU_CYCLE_1)
	s_and_saveexec_b32 s19, s8
	s_xor_b32 s8, exec_lo, s19
	s_cbranch_execz .LBB4_291
; %bb.290:                              ;   in Loop: Header=BB4_279 Depth=2
	v_mov_b32_e32 v21, 1
	s_wait_storecnt 0x0
	s_wait_loadcnt_dscnt 0x0
	ds_store_b32 v0, v5
	s_trap 2
.LBB4_291:                              ;   in Loop: Header=BB4_279 Depth=2
	s_or_b32 exec_lo, exec_lo, s8
.LBB4_292:                              ;   in Loop: Header=BB4_279 Depth=2
	s_delay_alu instid0(SALU_CYCLE_1)
	s_or_b32 exec_lo, exec_lo, s18
	s_and_saveexec_b32 s8, s2
	s_cbranch_execz .LBB4_294
; %bb.293:                              ;   in Loop: Header=BB4_279 Depth=2
	v_and_b32_e32 v64, 0x7ffffff8, v14
	s_delay_alu instid0(VALU_DEP_1) | instskip(SKIP_1) | instid1(VALU_DEP_1)
	v_cmp_eq_u64_e32 vcc_lo, 0x7ffffff8, v[64:65]
	v_cndmask_b32_e64 v16, v59, s11, vcc_lo
	v_dual_ashrrev_i32 v17, 31, v16 :: v_dual_bitop2_b32 v5, 7, v14 bitop3:0x40
	s_delay_alu instid0(VALU_DEP_1)
	v_mad_nc_u64_u32 v[14:15], v5, 24, v[12:13]
	flat_store_b64 v[14:15], v[16:17] offset:8 scope:SCOPE_SYS
	s_wait_storecnt 0x0
.LBB4_294:                              ;   in Loop: Header=BB4_279 Depth=2
	s_wait_xcnt 0x0
	s_or_b32 exec_lo, exec_lo, s8
	v_mov_b64_e32 v[14:15], v[2:3]
.LBB4_295:                              ;   in Loop: Header=BB4_279 Depth=2
	s_or_b32 exec_lo, exec_lo, s17
	s_and_saveexec_b32 s8, s3
	s_cbranch_execz .LBB4_314
; %bb.296:                              ;   in Loop: Header=BB4_279 Depth=2
	s_and_saveexec_b32 s17, s4
	s_delay_alu instid0(SALU_CYCLE_1)
	s_xor_b32 s17, exec_lo, s17
	s_cbranch_execz .LBB4_311
; %bb.297:                              ;   in Loop: Header=BB4_279 Depth=2
	s_and_saveexec_b32 s18, s5
	s_cbranch_execz .LBB4_310
; %bb.298:                              ;   in Loop: Header=BB4_279 Depth=2
	s_mov_b32 s20, exec_lo
	s_mov_b32 s19, exec_lo
	v_mbcnt_lo_u32_b32 v2, s20, 0
	global_wb scope:SCOPE_DEV
	s_wait_storecnt 0x0
	s_wait_loadcnt_dscnt 0x0
	global_inv scope:SCOPE_DEV
	v_cmpx_eq_u32_e32 0, v2
	s_cbranch_execz .LBB4_300
; %bb.299:                              ;   in Loop: Header=BB4_279 Depth=2
	s_bcnt1_i32_b32 s20, s20
	s_delay_alu instid0(SALU_CYCLE_1)
	v_mov_b32_e32 v64, s20
	s_wait_loadcnt 0x0
	ds_add_u64 v0, v[64:65]
	s_trap 2
.LBB4_300:                              ;   in Loop: Header=BB4_279 Depth=2
	s_or_b32 exec_lo, exec_lo, s19
	s_trap 2
	ds_load_b64 v[2:3], v0
	s_wait_dscnt 0x0
	v_add_nc_u64_e32 v[52:53], v[52:53], v[82:83]
	s_mov_b32 s19, exec_lo
	s_delay_alu instid0(VALU_DEP_1)
	v_cmpx_lt_u64_e64 v[2:3], v[52:53]
	s_cbranch_execz .LBB4_309
; %bb.301:                              ;   in Loop: Header=BB4_279 Depth=2
	s_mov_b32 s20, 0
	s_mov_b32 s23, 0
                                        ; implicit-def: $sgpr21
                                        ; implicit-def: $sgpr22
	s_branch .LBB4_303
.LBB4_302:                              ;   in Loop: Header=BB4_303 Depth=3
	s_or_b32 exec_lo, exec_lo, s25
	s_delay_alu instid0(SALU_CYCLE_1) | instskip(NEXT) | instid1(SALU_CYCLE_1)
	s_and_b32 s24, exec_lo, s26
	s_or_b32 s20, s24, s20
	s_and_not1_b32 s21, s21, exec_lo
	s_and_b32 s24, s22, exec_lo
	s_delay_alu instid0(SALU_CYCLE_1)
	s_or_b32 s21, s21, s24
	s_and_not1_b32 exec_lo, exec_lo, s20
	s_cbranch_execz .LBB4_307
.LBB4_303:                              ;   Parent Loop BB4_42 Depth=1
                                        ;     Parent Loop BB4_279 Depth=2
                                        ; =>    This Inner Loop Header: Depth=3
	s_add_co_i32 s23, s23, 1
	s_delay_alu instid0(SALU_CYCLE_1) | instskip(SKIP_1) | instid1(SALU_CYCLE_1)
	s_cmp_lg_u32 s23, 0x2710
	s_cselect_b32 s24, -1, 0
	s_and_b32 vcc_lo, exec_lo, s24
	s_cbranch_vccz .LBB4_305
; %bb.304:                              ;   in Loop: Header=BB4_303 Depth=3
	s_mov_b32 s26, -1
	s_or_b32 s22, s22, exec_lo
	s_and_saveexec_b32 s25, s24
	s_cbranch_execz .LBB4_302
	s_branch .LBB4_306
.LBB4_305:                              ;   in Loop: Header=BB4_303 Depth=3
	s_trap 2
	ds_load_b64 v[2:3], v0
	s_and_not1_b32 s24, s24, exec_lo
	s_mov_b32 s23, 0
	s_wait_loadcnt_dscnt 0x0
	flat_load_b32 v2, v[2:3] scope:SCOPE_SYS
	s_wait_loadcnt_dscnt 0x0
	global_inv scope:SCOPE_SYS
	v_cmp_eq_u32_e32 vcc_lo, 0, v2
	s_and_b32 s25, vcc_lo, exec_lo
	s_delay_alu instid0(SALU_CYCLE_1)
	s_or_b32 s24, s24, s25
	s_mov_b32 s26, -1
	s_or_b32 s22, s22, exec_lo
	s_and_saveexec_b32 s25, s24
	s_cbranch_execz .LBB4_302
.LBB4_306:                              ;   in Loop: Header=BB4_303 Depth=3
	s_sleep 1
	s_trap 2
	ds_load_b64 v[2:3], v0
	s_wait_dscnt 0x0
	s_and_not1_b32 s22, s22, exec_lo
	v_cmp_ge_u64_e32 vcc_lo, v[2:3], v[52:53]
	s_or_not1_b32 s26, vcc_lo, exec_lo
	s_branch .LBB4_302
.LBB4_307:                              ;   in Loop: Header=BB4_279 Depth=2
	s_or_b32 exec_lo, exec_lo, s20
	s_and_saveexec_b32 s20, s21
	s_delay_alu instid0(SALU_CYCLE_1)
	s_xor_b32 s20, exec_lo, s20
	s_cbranch_execz .LBB4_309
; %bb.308:                              ;   in Loop: Header=BB4_279 Depth=2
	ds_store_b32 v0, v1
	s_trap 2
.LBB4_309:                              ;   in Loop: Header=BB4_279 Depth=2
	s_or_b32 exec_lo, exec_lo, s19
	;;#ASMSTART
	s_wakeup
	;;#ASMEND
.LBB4_310:                              ;   in Loop: Header=BB4_279 Depth=2
	s_or_b32 exec_lo, exec_lo, s18
.LBB4_311:                              ;   in Loop: Header=BB4_279 Depth=2
	s_and_not1_saveexec_b32 s17, s17
	s_cbranch_execz .LBB4_313
; %bb.312:                              ;   in Loop: Header=BB4_279 Depth=2
	global_wb scope:SCOPE_DEV
	s_wait_storecnt 0x0
	s_wait_loadcnt_dscnt 0x0
	global_inv scope:SCOPE_DEV
	s_barrier_signal -1
	s_barrier_wait -1
.LBB4_313:                              ;   in Loop: Header=BB4_279 Depth=2
	s_or_b32 exec_lo, exec_lo, s17
.LBB4_314:                              ;   in Loop: Header=BB4_279 Depth=2
	s_delay_alu instid0(SALU_CYCLE_1)
	s_or_b32 exec_lo, exec_lo, s8
	v_dual_mov_b32 v64, v0 :: v_dual_add_nc_u32 v3, 1, v114
	s_and_saveexec_b32 s17, s7
	s_cbranch_execnz .LBB4_321
; %bb.315:                              ;   in Loop: Header=BB4_279 Depth=2
	s_or_b32 exec_lo, exec_lo, s17
	s_and_saveexec_b32 s8, s3
	s_cbranch_execnz .LBB4_776
.LBB4_316:                              ;   in Loop: Header=BB4_279 Depth=2
	s_or_b32 exec_lo, exec_lo, s8
	s_and_saveexec_b32 s8, s6
	s_cbranch_execz .LBB4_318
.LBB4_317:                              ;   in Loop: Header=BB4_279 Depth=2
	v_add_nc_u64_e32 v[38:39], 1, v[38:39]
	global_wb scope:SCOPE_SYS
	s_wait_storecnt 0x0
	s_wait_loadcnt_dscnt 0x0
	flat_store_b64 v[48:49], v[38:39] scope:SCOPE_SYS
.LBB4_318:                              ;   in Loop: Header=BB4_279 Depth=2
	s_wait_xcnt 0x0
	s_or_b32 exec_lo, exec_lo, s8
	s_wait_loadcnt_dscnt 0x0
	v_and_b32_e32 v4, 0x7ffffff8, v114
	v_mov_b32_e32 v5, v65
	v_cmp_gt_i32_e64 s8, s13, v64
	s_delay_alu instid0(VALU_DEP_2) | instskip(SKIP_1) | instid1(SALU_CYCLE_1)
	v_cmp_eq_u64_e32 vcc_lo, 0x7ffffff8, v[4:5]
	s_and_b32 s17, vcc_lo, s8
	s_and_saveexec_b32 s8, s17
	s_cbranch_execz .LBB4_278
; %bb.319:                              ;   in Loop: Header=BB4_279 Depth=2
	v_dual_mov_b32 v16, v64 :: v_dual_bitop2_b32 v2, 7, v60 bitop3:0x40
	v_ashrrev_i32_e32 v17, 31, v64
	s_mov_b32 s17, 0
	s_delay_alu instid0(VALU_DEP_2) | instskip(NEXT) | instid1(VALU_DEP_1)
	v_mul_lo_u32 v4, s13, v2
	v_dual_mov_b32 v2, v65 :: v_dual_ashrrev_i32 v5, 31, v4
	s_delay_alu instid0(VALU_DEP_1) | instskip(NEXT) | instid1(VALU_DEP_1)
	v_lshlrev_b64_e32 v[4:5], 4, v[4:5]
	v_lshl_add_u64 v[4:5], v[16:17], 4, v[4:5]
	s_delay_alu instid0(VALU_DEP_1)
	v_add_nc_u64_e32 v[16:17], v[36:37], v[4:5]
.LBB4_320:                              ;   Parent Loop BB4_42 Depth=1
                                        ;     Parent Loop BB4_279 Depth=2
                                        ; =>    This Inner Loop Header: Depth=3
	s_delay_alu instid0(VALU_DEP_4) | instskip(SKIP_1) | instid1(VALU_DEP_2)
	v_dual_mov_b32 v4, v2 :: v_dual_add_nc_u32 v64, v64, v20
	v_mov_b32_e32 v5, v3
	v_cmp_le_i32_e32 vcc_lo, s13, v64
	global_store_b128 v[16:17], v[2:5], off
	s_wait_xcnt 0x0
	v_add_nc_u64_e32 v[16:17], v[16:17], v[102:103]
	s_or_b32 s17, vcc_lo, s17
	s_delay_alu instid0(SALU_CYCLE_1)
	s_and_not1_b32 exec_lo, exec_lo, s17
	s_cbranch_execnz .LBB4_320
	s_branch .LBB4_278
.LBB4_321:                              ;   in Loop: Header=BB4_279 Depth=2
	v_and_b32_e32 v2, 7, v34
	s_wait_loadcnt_dscnt 0x0
	v_mad_nc_u64_u32 v[118:119], v68, v4, v[116:117]
	v_dual_mov_b32 v64, v0 :: v_dual_add_nc_u32 v61, 1, v34
	s_mov_b32 s18, 0
	v_mul_lo_u32 v16, v2, s13
	v_dual_mov_b32 v62, v58 :: v_dual_bitop2_b32 v5, 7, v114 bitop3:0x40
	s_delay_alu instid0(VALU_DEP_4) | instskip(SKIP_1) | instid1(VALU_DEP_4)
	v_mad_u32 v2, v69, v4, v119
	v_ashrrev_i32_e32 v4, 31, v4
	v_ashrrev_i32_e32 v17, 31, v16
	s_delay_alu instid0(VALU_DEP_4) | instskip(NEXT) | instid1(VALU_DEP_2)
	v_mul_lo_u32 v18, v5, s13
	v_lshl_add_u64 v[40:41], v[16:17], 4, v[32:33]
	s_delay_alu instid0(VALU_DEP_4) | instskip(NEXT) | instid1(VALU_DEP_3)
	v_mad_u32 v119, v68, v4, v2
	v_ashrrev_i32_e32 v19, 31, v18
	s_delay_alu instid0(VALU_DEP_1)
	v_lshl_add_u64 v[42:43], v[18:19], 4, v[36:37]
	s_branch .LBB4_323
.LBB4_322:                              ;   in Loop: Header=BB4_323 Depth=3
	s_or_b32 exec_lo, exec_lo, s8
	v_dual_lshlrev_b32 v5, 8, v72 :: v_dual_lshlrev_b32 v16, 16, v46
	v_dual_lshlrev_b32 v17, 8, v63 :: v_dual_lshlrev_b32 v18, 16, v44
	;; [unrolled: 1-line block ×3, first 2 shown]
	s_delay_alu instid0(VALU_DEP_3) | instskip(SKIP_1) | instid1(VALU_DEP_4)
	v_or3_b32 v2, v5, v2, v16
	v_sub_nc_u32_e32 v62, v62, v86
	v_or3_b32 v5, v17, v19, v18
	v_add_nc_u64_e32 v[118:119], v[118:119], v[86:87]
	v_lshl_add_u64 v[16:17], v[64:65], 4, v[42:43]
	v_or3_b32 v2, v2, v44, 0
	v_add_nc_u32_e32 v64, v64, v20
	v_or3_b32 v4, v5, v4, 0
	v_mov_b32_e32 v5, v3
	v_cmp_gt_i32_e32 vcc_lo, 1, v62
	global_store_b128 v[16:17], v[2:5], off
	s_or_b32 s18, vcc_lo, s18
	s_wait_xcnt 0x0
	s_and_not1_b32 exec_lo, exec_lo, s18
	s_cbranch_execz .LBB4_775
.LBB4_323:                              ;   Parent Loop BB4_42 Depth=1
                                        ;     Parent Loop BB4_279 Depth=2
                                        ; =>    This Loop Header: Depth=3
                                        ;         Child Loop BB4_331 Depth 4
	s_delay_alu instid0(VALU_DEP_3)
	v_dual_mov_b32 v5, v119 :: v_dual_bitop2_b32 v4, -4, v118 bitop3:0x40
	v_min_u32_e32 v16, 8, v62
	v_dual_mov_b32 v63, 0 :: v_dual_bitop2_b32 v17, 3, v118 bitop3:0x40
	v_mov_b32_e32 v73, 0
	global_load_b32 v2, v[4:5], off th:TH_LOAD_NT
	s_mov_b32 s8, exec_lo
	v_add_nc_u32_e32 v16, v17, v16
	s_wait_xcnt 0x0
	s_delay_alu instid0(VALU_DEP_1)
	v_cmpx_lt_u32_e32 4, v16
	s_cbranch_execz .LBB4_325
; %bb.324:                              ;   in Loop: Header=BB4_323 Depth=3
	global_load_b32 v73, v[4:5], off offset:4 th:TH_LOAD_NT
.LBB4_325:                              ;   in Loop: Header=BB4_323 Depth=3
	s_wait_xcnt 0x0
	s_or_b32 exec_lo, exec_lo, s8
	v_mov_b32_e32 v17, v65
	s_mov_b32 s8, exec_lo
	s_delay_alu instid0(VALU_DEP_1)
	v_cmpx_lt_u64_e32 8, v[16:17]
	s_cbranch_execz .LBB4_327
; %bb.326:                              ;   in Loop: Header=BB4_323 Depth=3
	global_load_b32 v63, v[4:5], off offset:8 th:TH_LOAD_NT
.LBB4_327:                              ;   in Loop: Header=BB4_323 Depth=3
	s_wait_xcnt 0x0
	s_or_b32 exec_lo, exec_lo, s8
	v_lshl_add_u64 v[4:5], v[64:65], 4, v[40:41]
	v_cmp_eq_u32_e32 vcc_lo, 0, v21
	v_mov_b32_e32 v21, 1
	global_load_b128 v[16:19], v[4:5], off th:TH_LOAD_NT
	s_wait_xcnt 0x0
	s_and_saveexec_b32 s19, vcc_lo
	s_cbranch_execz .LBB4_339
; %bb.328:                              ;   in Loop: Header=BB4_323 Depth=3
	s_wait_loadcnt 0x0
	v_cmp_ne_u32_e32 vcc_lo, v61, v17
	v_cmp_ne_u32_e64 s8, v61, v19
	v_mov_b32_e32 v21, 0
	s_or_b32 s8, vcc_lo, s8
	s_delay_alu instid0(SALU_CYCLE_1)
	s_and_saveexec_b32 s20, s8
	s_cbranch_execz .LBB4_338
; %bb.329:                              ;   in Loop: Header=BB4_323 Depth=3
	s_mov_b32 s24, 1
	s_mov_b32 s22, 0
                                        ; implicit-def: $sgpr21
                                        ; implicit-def: $sgpr23
	s_branch .LBB4_331
.LBB4_330:                              ;   in Loop: Header=BB4_331 Depth=4
	s_or_b32 exec_lo, exec_lo, s26
	s_delay_alu instid0(SALU_CYCLE_1) | instskip(NEXT) | instid1(SALU_CYCLE_1)
	s_and_b32 s8, exec_lo, s8
	s_or_b32 s22, s8, s22
	s_and_not1_b32 s8, s21, exec_lo
	s_and_b32 s21, s23, exec_lo
	s_delay_alu instid0(SALU_CYCLE_1)
	s_or_b32 s21, s8, s21
	s_and_not1_b32 exec_lo, exec_lo, s22
	s_cbranch_execz .LBB4_335
.LBB4_331:                              ;   Parent Loop BB4_42 Depth=1
                                        ;     Parent Loop BB4_279 Depth=2
                                        ;       Parent Loop BB4_323 Depth=3
                                        ; =>      This Inner Loop Header: Depth=4
	s_wait_loadcnt 0x0
	global_load_b128 v[16:19], v[4:5], off th:TH_LOAD_NT
	s_add_co_i32 s24, s24, 1
	s_mov_b32 s8, -1
	s_cmp_lg_u32 s24, 0x2710
	s_mov_b32 s25, -1
                                        ; implicit-def: $vgpr44
	s_cbranch_scc0 .LBB4_333
; %bb.332:                              ;   in Loop: Header=BB4_331 Depth=4
	s_or_b32 s23, s23, exec_lo
	s_wait_xcnt 0x0
	s_and_saveexec_b32 s26, s25
	s_cbranch_execz .LBB4_330
	s_branch .LBB4_334
.LBB4_333:                              ;   in Loop: Header=BB4_331 Depth=4
	s_trap 2
	ds_load_b64 v[44:45], v0
	s_mov_b32 s24, 0
	s_wait_storecnt 0x0
	s_wait_loadcnt_dscnt 0x0
	flat_load_b32 v44, v[44:45] scope:SCOPE_SYS
	s_wait_loadcnt_dscnt 0x0
	global_inv scope:SCOPE_SYS
	v_cmp_eq_u32_e32 vcc_lo, 0, v44
	s_or_not1_b32 s25, vcc_lo, exec_lo
	s_or_b32 s23, s23, exec_lo
	s_wait_xcnt 0x0
	s_and_saveexec_b32 s26, s25
	s_cbranch_execz .LBB4_330
.LBB4_334:                              ;   in Loop: Header=BB4_331 Depth=4
	s_wait_loadcnt 0x0
	v_cmp_eq_u32_e32 vcc_lo, v61, v17
	v_cmp_eq_u32_e64 s8, v61, v19
	s_and_not1_b32 s23, s23, exec_lo
	s_and_b32 s8, vcc_lo, s8
	s_delay_alu instid0(SALU_CYCLE_1)
	s_or_not1_b32 s8, s8, exec_lo
	s_branch .LBB4_330
.LBB4_335:                              ;   in Loop: Header=BB4_323 Depth=3
	s_or_b32 exec_lo, exec_lo, s22
	v_mov_b32_e32 v21, 0
	s_and_saveexec_b32 s8, s21
	s_delay_alu instid0(SALU_CYCLE_1)
	s_xor_b32 s8, exec_lo, s8
	s_cbranch_execz .LBB4_337
; %bb.336:                              ;   in Loop: Header=BB4_323 Depth=3
	v_mov_b32_e32 v21, 1
	s_wait_loadcnt 0x0
	s_wait_storecnt 0x0
	ds_store_b32 v0, v44
	s_trap 2
.LBB4_337:                              ;   in Loop: Header=BB4_323 Depth=3
	s_or_b32 exec_lo, exec_lo, s8
.LBB4_338:                              ;   in Loop: Header=BB4_323 Depth=3
	s_delay_alu instid0(SALU_CYCLE_1)
	s_or_b32 exec_lo, exec_lo, s20
.LBB4_339:                              ;   in Loop: Header=BB4_323 Depth=3
	s_delay_alu instid0(SALU_CYCLE_1) | instskip(SKIP_3) | instid1(VALU_DEP_1)
	s_or_b32 exec_lo, exec_lo, s19
	v_dual_mov_b32 v5, v65 :: v_dual_lshlrev_b32 v74, 3, v118
	s_mov_b32 s8, exec_lo
	s_wait_loadcnt 0x1
	v_alignbit_b32 v4, v73, v2, v74
	v_mov_b32_e32 v2, 0
	s_delay_alu instid0(VALU_DEP_2) | instskip(NEXT) | instid1(VALU_DEP_1)
	v_and_b32_e32 v44, 0xff, v4
	v_cmpx_ne_u16_e32 0, v44
	s_cbranch_execz .LBB4_345
; %bb.340:                              ;   in Loop: Header=BB4_323 Depth=3
	v_bfrev_b32_e32 v2, 1
	s_mov_b32 s19, exec_lo
	v_cmpx_ne_u16_e32 0x80, v44
	s_cbranch_execz .LBB4_344
; %bb.341:                              ;   in Loop: Header=BB4_323 Depth=3
	v_and_b32_e32 v44, 0x7f, v4
	v_mov_b32_e32 v2, 0x7f800001
	s_mov_b32 s20, exec_lo
	s_delay_alu instid0(VALU_DEP_2)
	v_cmpx_ne_u32_e32 0x7f, v44
	s_cbranch_execz .LBB4_343
; %bb.342:                              ;   in Loop: Header=BB4_323 Depth=3
	v_cmp_gt_u32_e32 vcc_lo, 8, v44
	v_and_b32_e32 v2, 7, v4
	s_delay_alu instid0(VALU_DEP_1) | instskip(NEXT) | instid1(VALU_DEP_1)
	v_clz_i32_u32_e32 v2, v2
	v_min_u32_e32 v2, 32, v2
	v_lshrrev_b32_e32 v45, 3, v44
	s_delay_alu instid0(VALU_DEP_2) | instskip(SKIP_1) | instid1(VALU_DEP_2)
	v_subrev_nc_u32_e32 v46, 28, v2
	v_sub_nc_u32_e32 v2, 29, v2
	v_cndmask_b32_e32 v44, 0, v46, vcc_lo
	s_delay_alu instid0(VALU_DEP_2) | instskip(NEXT) | instid1(VALU_DEP_2)
	v_cndmask_b32_e32 v2, v45, v2, vcc_lo
	v_lshlrev_b64_e32 v[44:45], v44, v[4:5]
	v_lshlrev_b32_e32 v5, 24, v4
	s_delay_alu instid0(VALU_DEP_3) | instskip(NEXT) | instid1(VALU_DEP_2)
	v_lshl_add_u32 v2, v2, 23, 0x3c000000
	v_and_b32_e32 v5, 0x80000000, v5
	s_delay_alu instid0(VALU_DEP_4) | instskip(NEXT) | instid1(VALU_DEP_1)
	v_lshlrev_b32_e32 v44, 20, v44
	v_and_b32_e32 v44, 0x700000, v44
	s_delay_alu instid0(VALU_DEP_1)
	v_or3_b32 v2, v44, v5, v2
.LBB4_343:                              ;   in Loop: Header=BB4_323 Depth=3
	s_or_b32 exec_lo, exec_lo, s20
.LBB4_344:                              ;   in Loop: Header=BB4_323 Depth=3
	s_delay_alu instid0(SALU_CYCLE_1)
	s_or_b32 exec_lo, exec_lo, s19
.LBB4_345:                              ;   in Loop: Header=BB4_323 Depth=3
	s_delay_alu instid0(SALU_CYCLE_1) | instskip(NEXT) | instid1(VALU_DEP_1)
	s_or_b32 exec_lo, exec_lo, s8
	v_dual_mul_f32 v44, v30, v2 :: v_dual_mov_b32 v47, v65
                                        ; implicit-def: $vgpr2
	s_mov_b32 s8, exec_lo
	s_delay_alu instid0(VALU_DEP_1) | instskip(SKIP_1) | instid1(VALU_DEP_2)
	v_and_b32_e32 v46, 0x7f800000, v44
	v_lshrrev_b32_e32 v5, 24, v44
	v_cmpx_ne_u64_e32 0x7f800000, v[46:47]
	s_xor_b32 s19, exec_lo, s8
	s_cbranch_execz .LBB4_359
; %bb.346:                              ;   in Loop: Header=BB4_323 Depth=3
	v_and_b32_e32 v46, 0x7fffffff, v44
	v_mov_b32_e32 v47, v65
	v_and_b32_e32 v5, 0x80, v5
                                        ; implicit-def: $vgpr2
	s_mov_b32 s8, exec_lo
	s_delay_alu instid0(VALU_DEP_2)
	v_cmpx_gt_u64_e32 0x43e00001, v[46:47]
	s_xor_b32 s20, exec_lo, s8
	s_cbranch_execz .LBB4_356
; %bb.347:                              ;   in Loop: Header=BB4_323 Depth=3
	v_mov_b32_e32 v2, 0
	s_mov_b32 s21, exec_lo
	v_cmpx_ne_u32_e32 0, v44
	s_cbranch_execz .LBB4_355
; %bb.348:                              ;   in Loop: Header=BB4_323 Depth=3
	v_bfe_u32 v2, v44, 23, 8
	v_and_b32_e32 v46, 0x7fffff, v44
	s_mov_b32 s22, exec_lo
	s_delay_alu instid0(VALU_DEP_2) | instskip(SKIP_1) | instid1(VALU_DEP_3)
	v_sub_nc_u32_e32 v45, 0x79, v2
	v_cmp_gt_u32_e32 vcc_lo, 0x7a, v2
	v_or_b32_e32 v47, 0x800000, v46
	s_delay_alu instid0(VALU_DEP_3) | instskip(SKIP_1) | instid1(VALU_DEP_2)
	v_cndmask_b32_e32 v45, 0, v45, vcc_lo
	v_cmp_eq_u32_e32 vcc_lo, 0, v2
	v_cndmask_b32_e64 v72, v45, 0x78, vcc_lo
	s_delay_alu instid0(VALU_DEP_4) | instskip(NEXT) | instid1(VALU_DEP_2)
	v_dual_cndmask_b32 v46, v47, v46 :: v_dual_mov_b32 v47, v65
	v_dual_add_nc_u32 v44, 20, v72 :: v_dual_add_nc_u32 v75, 19, v72
	s_delay_alu instid0(VALU_DEP_1) | instskip(NEXT) | instid1(VALU_DEP_2)
	v_lshlrev_b64_e64 v[44:45], v44, -1
	v_lshlrev_b64_e64 v[76:77], v75, 1
	s_delay_alu instid0(VALU_DEP_2) | instskip(NEXT) | instid1(VALU_DEP_3)
	v_bfi_b32 v79, v45, 0, 0
	v_bfi_b32 v78, v44, 0, v46
	v_lshrrev_b64 v[44:45], v72, v[46:47]
	s_delay_alu instid0(VALU_DEP_1) | instskip(NEXT) | instid1(VALU_DEP_3)
	v_mov_b64_e32 v[46:47], v[44:45]
	v_cmpx_eq_u64_e64 v[78:79], v[76:77]
; %bb.349:                              ;   in Loop: Header=BB4_323 Depth=3
	v_bfe_u32 v46, v44, 20, 1
	v_mov_b32_e32 v47, v65
	s_delay_alu instid0(VALU_DEP_1) | instskip(NEXT) | instid1(VALU_DEP_1)
	v_add_nc_u64_e32 v[46:47], v[44:45], v[46:47]
	v_add_nc_u64_e32 v[46:47], -1, v[46:47]
; %bb.350:                              ;   in Loop: Header=BB4_323 Depth=3
	s_or_b32 exec_lo, exec_lo, s22
	v_add_nc_u32_e32 v2, 0xffffff81, v2
	v_lshrrev_b32_e32 v45, 23, v44
	s_mov_b32 s8, exec_lo
	s_delay_alu instid0(VALU_DEP_2) | instskip(NEXT) | instid1(VALU_DEP_1)
	v_cndmask_b32_e64 v2, v2, 0xffffff82, vcc_lo
	v_add3_u32 v47, v72, v2, v45
	v_and_b32_e32 v2, 0xfffff, v46
	s_delay_alu instid0(VALU_DEP_2) | instskip(NEXT) | instid1(VALU_DEP_2)
	v_dual_mov_b32 v45, v65 :: v_dual_add_nc_u32 v46, 6, v47
	v_add_nc_u32_e32 v44, v2, v44
                                        ; implicit-def: $vgpr2
	s_delay_alu instid0(VALU_DEP_2)
	v_cmpx_ne_u32_e32 0, v46
	s_xor_b32 s8, exec_lo, s8
; %bb.351:                              ;   in Loop: Header=BB4_323 Depth=3
	s_delay_alu instid0(VALU_DEP_2) | instskip(SKIP_1) | instid1(VALU_DEP_1)
	v_cmp_lt_u64_e32 vcc_lo, 0xffffff, v[44:45]
	v_add_nc_u32_e32 v2, 7, v47
	v_cndmask_b32_e32 v2, v46, v2, vcc_lo
	v_cndmask_b32_e64 v46, 0, 1, vcc_lo
	s_delay_alu instid0(VALU_DEP_1)
	v_lshrrev_b64 v[44:45], v46, v[44:45]
; %bb.352:                              ;   in Loop: Header=BB4_323 Depth=3
	s_and_not1_saveexec_b32 s8, s8
; %bb.353:                              ;   in Loop: Header=BB4_323 Depth=3
	s_delay_alu instid0(VALU_DEP_1)
	v_bfe_u32 v2, v44, 23, 1
; %bb.354:                              ;   in Loop: Header=BB4_323 Depth=3
	s_or_b32 exec_lo, exec_lo, s8
	s_delay_alu instid0(VALU_DEP_2) | instskip(NEXT) | instid1(VALU_DEP_2)
	v_lshrrev_b64 v[44:45], 20, v[44:45]
	v_cmp_gt_i32_e32 vcc_lo, 16, v2
	v_min_i32_e32 v46, 15, v2
	v_cmp_eq_u32_e64 s8, 0, v2
	s_delay_alu instid0(VALU_DEP_2) | instskip(SKIP_1) | instid1(VALU_DEP_2)
	v_dual_cndmask_b32 v45, 0, v45 :: v_dual_lshlrev_b32 v46, 3, v46
	v_cndmask_b32_e32 v44, 7, v44, vcc_lo
	v_and_b32_e32 v46, 0xf8, v46
	s_delay_alu instid0(VALU_DEP_2) | instskip(NEXT) | instid1(VALU_DEP_2)
	v_cmp_eq_u64_e32 vcc_lo, 0, v[44:45]
	v_and_or_b32 v2, v44, 7, v46
	s_and_b32 s8, s8, vcc_lo
	s_delay_alu instid0(VALU_DEP_1) | instid1(SALU_CYCLE_1)
	v_cndmask_b32_e64 v2, v2, 0, s8
	s_delay_alu instid0(VALU_DEP_1)
	v_or_b32_e32 v2, v2, v5
.LBB4_355:                              ;   in Loop: Header=BB4_323 Depth=3
	s_or_b32 exec_lo, exec_lo, s21
                                        ; implicit-def: $vgpr5
.LBB4_356:                              ;   in Loop: Header=BB4_323 Depth=3
	s_and_not1_saveexec_b32 s8, s20
; %bb.357:                              ;   in Loop: Header=BB4_323 Depth=3
	v_or_b32_e32 v2, 0x7e, v5
; %bb.358:                              ;   in Loop: Header=BB4_323 Depth=3
	s_or_b32 exec_lo, exec_lo, s8
                                        ; implicit-def: $vgpr5
.LBB4_359:                              ;   in Loop: Header=BB4_323 Depth=3
	s_and_not1_saveexec_b32 s8, s19
; %bb.360:                              ;   in Loop: Header=BB4_323 Depth=3
	v_or_b32_e32 v2, 0x7f, v5
; %bb.361:                              ;   in Loop: Header=BB4_323 Depth=3
	s_or_b32 exec_lo, exec_lo, s8
	v_lshrrev_b16 v44, 8, v4
	v_mov_b32_e32 v5, 0
	s_mov_b32 s8, exec_lo
	s_delay_alu instid0(VALU_DEP_2)
	v_cmpx_ne_u16_e32 0, v44
	s_cbranch_execz .LBB4_369
; %bb.362:                              ;   in Loop: Header=BB4_323 Depth=3
	v_bfrev_b32_e32 v5, 1
	s_mov_b32 s19, exec_lo
	v_cmpx_ne_u16_e32 0x80, v44
	s_cbranch_execz .LBB4_368
; %bb.363:                              ;   in Loop: Header=BB4_323 Depth=3
	v_and_b32_e32 v44, 0xffff, v44
	v_mov_b32_e32 v5, 0x7f800001
	s_mov_b32 s20, exec_lo
	s_delay_alu instid0(VALU_DEP_2) | instskip(NEXT) | instid1(VALU_DEP_1)
	v_and_b32_e32 v46, 0x7f, v44
	v_cmpx_ne_u32_e32 0x7f, v46
	s_cbranch_execz .LBB4_367
; %bb.364:                              ;   in Loop: Header=BB4_323 Depth=3
	v_dual_mov_b32 v45, v65 :: v_dual_bitop2_b32 v44, 7, v44 bitop3:0x40
	v_lshrrev_b32_e32 v5, 3, v46
	s_mov_b32 s21, exec_lo
	v_cmpx_gt_u32_e32 8, v46
; %bb.365:                              ;   in Loop: Header=BB4_323 Depth=3
	s_delay_alu instid0(VALU_DEP_3) | instskip(NEXT) | instid1(VALU_DEP_1)
	v_clz_i32_u32_e32 v5, v44
	v_min_u32_e32 v5, 32, v5
	s_delay_alu instid0(VALU_DEP_1) | instskip(NEXT) | instid1(VALU_DEP_1)
	v_subrev_nc_u32_e32 v46, 28, v5
	v_lshlrev_b64_e32 v[44:45], v46, v[44:45]
	s_delay_alu instid0(VALU_DEP_1)
	v_dual_sub_nc_u32 v5, 29, v5 :: v_dual_bitop2_b32 v44, 7, v44 bitop3:0x40
; %bb.366:                              ;   in Loop: Header=BB4_323 Depth=3
	s_or_b32 exec_lo, exec_lo, s21
	v_lshlrev_b32_e32 v45, 16, v4
	s_delay_alu instid0(VALU_DEP_2) | instskip(NEXT) | instid1(VALU_DEP_3)
	v_lshlrev_b32_e32 v44, 20, v44
	v_lshl_add_u32 v5, v5, 23, 0x3c000000
	s_delay_alu instid0(VALU_DEP_3) | instskip(NEXT) | instid1(VALU_DEP_1)
	v_and_b32_e32 v45, 0x80000000, v45
	v_or3_b32 v5, v44, v45, v5
.LBB4_367:                              ;   in Loop: Header=BB4_323 Depth=3
	s_or_b32 exec_lo, exec_lo, s20
.LBB4_368:                              ;   in Loop: Header=BB4_323 Depth=3
	s_delay_alu instid0(SALU_CYCLE_1)
	s_or_b32 exec_lo, exec_lo, s19
.LBB4_369:                              ;   in Loop: Header=BB4_323 Depth=3
	s_delay_alu instid0(SALU_CYCLE_1) | instskip(NEXT) | instid1(VALU_DEP_1)
	s_or_b32 exec_lo, exec_lo, s8
	v_dual_mul_f32 v44, v30, v5 :: v_dual_mov_b32 v47, v65
                                        ; implicit-def: $vgpr72
	s_mov_b32 s8, exec_lo
	s_delay_alu instid0(VALU_DEP_1) | instskip(SKIP_1) | instid1(VALU_DEP_2)
	v_and_b32_e32 v46, 0x7f800000, v44
	v_lshrrev_b32_e32 v5, 24, v44
	v_cmpx_ne_u64_e32 0x7f800000, v[46:47]
	s_xor_b32 s19, exec_lo, s8
	s_cbranch_execz .LBB4_383
; %bb.370:                              ;   in Loop: Header=BB4_323 Depth=3
	v_and_b32_e32 v46, 0x7fffffff, v44
	v_mov_b32_e32 v47, v65
	v_and_b32_e32 v5, 0x80, v5
                                        ; implicit-def: $vgpr72
	s_mov_b32 s8, exec_lo
	s_delay_alu instid0(VALU_DEP_2)
	v_cmpx_gt_u64_e32 0x43e00001, v[46:47]
	s_xor_b32 s20, exec_lo, s8
	s_cbranch_execz .LBB4_380
; %bb.371:                              ;   in Loop: Header=BB4_323 Depth=3
	v_mov_b32_e32 v72, 0
	s_mov_b32 s21, exec_lo
	v_cmpx_ne_u32_e32 0, v44
	s_cbranch_execz .LBB4_379
; %bb.372:                              ;   in Loop: Header=BB4_323 Depth=3
	v_bfe_u32 v72, v44, 23, 8
	v_and_b32_e32 v46, 0x7fffff, v44
	s_mov_b32 s22, exec_lo
	s_delay_alu instid0(VALU_DEP_2) | instskip(NEXT) | instid1(VALU_DEP_2)
	v_cmp_gt_u32_e32 vcc_lo, 0x7a, v72
	v_or_b32_e32 v47, 0x800000, v46
	v_sub_nc_u32_e32 v45, 0x79, v72
	s_delay_alu instid0(VALU_DEP_1) | instskip(SKIP_1) | instid1(VALU_DEP_2)
	v_cndmask_b32_e32 v45, 0, v45, vcc_lo
	v_cmp_eq_u32_e32 vcc_lo, 0, v72
	v_cndmask_b32_e64 v75, v45, 0x78, vcc_lo
	v_dual_cndmask_b32 v46, v47, v46 :: v_dual_mov_b32 v47, v65
	s_delay_alu instid0(VALU_DEP_2) | instskip(NEXT) | instid1(VALU_DEP_1)
	v_dual_add_nc_u32 v76, 19, v75 :: v_dual_add_nc_u32 v44, 20, v75
	v_lshlrev_b64_e64 v[76:77], v76, 1
	s_delay_alu instid0(VALU_DEP_2) | instskip(NEXT) | instid1(VALU_DEP_1)
	v_lshlrev_b64_e64 v[44:45], v44, -1
	v_bfi_b32 v79, v45, 0, 0
	s_delay_alu instid0(VALU_DEP_2) | instskip(SKIP_1) | instid1(VALU_DEP_1)
	v_bfi_b32 v78, v44, 0, v46
	v_lshrrev_b64 v[44:45], v75, v[46:47]
	v_mov_b64_e32 v[46:47], v[44:45]
	s_delay_alu instid0(VALU_DEP_3)
	v_cmpx_eq_u64_e64 v[78:79], v[76:77]
; %bb.373:                              ;   in Loop: Header=BB4_323 Depth=3
	v_bfe_u32 v46, v44, 20, 1
	v_mov_b32_e32 v47, v65
	s_delay_alu instid0(VALU_DEP_1) | instskip(NEXT) | instid1(VALU_DEP_1)
	v_add_nc_u64_e32 v[46:47], v[44:45], v[46:47]
	v_add_nc_u64_e32 v[46:47], -1, v[46:47]
; %bb.374:                              ;   in Loop: Header=BB4_323 Depth=3
	s_or_b32 exec_lo, exec_lo, s22
	v_add_nc_u32_e32 v45, 0xffffff81, v72
	v_lshrrev_b32_e32 v47, 23, v44
	s_mov_b32 s8, exec_lo
	s_delay_alu instid0(VALU_DEP_2) | instskip(NEXT) | instid1(VALU_DEP_1)
	v_cndmask_b32_e64 v45, v45, 0xffffff82, vcc_lo
	v_add3_u32 v47, v75, v45, v47
	v_and_b32_e32 v45, 0xfffff, v46
                                        ; implicit-def: $vgpr46
	s_delay_alu instid0(VALU_DEP_1) | instskip(SKIP_1) | instid1(VALU_DEP_2)
	v_dual_add_nc_u32 v72, 6, v47 :: v_dual_add_nc_u32 v44, v45, v44
	v_mov_b32_e32 v45, v65
	v_cmpx_ne_u32_e32 0, v72
	s_xor_b32 s8, exec_lo, s8
; %bb.375:                              ;   in Loop: Header=BB4_323 Depth=3
	s_delay_alu instid0(VALU_DEP_2) | instskip(SKIP_2) | instid1(VALU_DEP_2)
	v_cmp_lt_u64_e32 vcc_lo, 0xffffff, v[44:45]
	v_add_nc_u32_e32 v46, 7, v47
	v_cndmask_b32_e64 v47, 0, 1, vcc_lo
	v_cndmask_b32_e32 v46, v72, v46, vcc_lo
	s_delay_alu instid0(VALU_DEP_2)
	v_lshrrev_b64 v[44:45], v47, v[44:45]
; %bb.376:                              ;   in Loop: Header=BB4_323 Depth=3
	s_and_not1_saveexec_b32 s8, s8
; %bb.377:                              ;   in Loop: Header=BB4_323 Depth=3
	s_delay_alu instid0(VALU_DEP_1)
	v_bfe_u32 v46, v44, 23, 1
; %bb.378:                              ;   in Loop: Header=BB4_323 Depth=3
	s_or_b32 exec_lo, exec_lo, s8
	s_delay_alu instid0(VALU_DEP_2) | instskip(NEXT) | instid1(VALU_DEP_2)
	v_lshrrev_b64 v[44:45], 20, v[44:45]
	v_cmp_gt_i32_e32 vcc_lo, 16, v46
	v_min_i32_e32 v47, 15, v46
	v_cmp_eq_u32_e64 s8, 0, v46
	s_delay_alu instid0(VALU_DEP_2) | instskip(SKIP_1) | instid1(VALU_DEP_2)
	v_dual_cndmask_b32 v45, 0, v45, vcc_lo :: v_dual_lshlrev_b32 v47, 3, v47
	v_cndmask_b32_e32 v44, 7, v44, vcc_lo
	v_and_b32_e32 v47, 0xf8, v47
	s_delay_alu instid0(VALU_DEP_2) | instskip(NEXT) | instid1(VALU_DEP_2)
	v_cmp_eq_u64_e32 vcc_lo, 0, v[44:45]
	v_and_or_b32 v44, v44, 7, v47
	s_and_b32 s8, s8, vcc_lo
	s_delay_alu instid0(VALU_DEP_1) | instid1(SALU_CYCLE_1)
	v_cndmask_b32_e64 v44, v44, 0, s8
	s_delay_alu instid0(VALU_DEP_1)
	v_or_b32_e32 v72, v44, v5
.LBB4_379:                              ;   in Loop: Header=BB4_323 Depth=3
	s_or_b32 exec_lo, exec_lo, s21
                                        ; implicit-def: $vgpr5
.LBB4_380:                              ;   in Loop: Header=BB4_323 Depth=3
	s_and_not1_saveexec_b32 s8, s20
; %bb.381:                              ;   in Loop: Header=BB4_323 Depth=3
	v_or_b32_e32 v72, 0x7e, v5
; %bb.382:                              ;   in Loop: Header=BB4_323 Depth=3
	s_or_b32 exec_lo, exec_lo, s8
                                        ; implicit-def: $vgpr5
.LBB4_383:                              ;   in Loop: Header=BB4_323 Depth=3
	s_and_not1_saveexec_b32 s8, s19
; %bb.384:                              ;   in Loop: Header=BB4_323 Depth=3
	v_or_b32_e32 v72, 0x7f, v5
; %bb.385:                              ;   in Loop: Header=BB4_323 Depth=3
	s_or_b32 exec_lo, exec_lo, s8
	v_dual_mov_b32 v44, 0 :: v_dual_lshrrev_b32 v5, 16, v4
	s_mov_b32 s8, exec_lo
	s_delay_alu instid0(VALU_DEP_1) | instskip(NEXT) | instid1(VALU_DEP_1)
	v_and_b32_e32 v45, 0xff, v5
	v_cmpx_ne_u16_e32 0, v45
	s_cbranch_execz .LBB4_393
; %bb.386:                              ;   in Loop: Header=BB4_323 Depth=3
	v_bfrev_b32_e32 v44, 1
	s_mov_b32 s19, exec_lo
	v_cmpx_ne_u16_e32 0x80, v45
	s_cbranch_execz .LBB4_392
; %bb.387:                              ;   in Loop: Header=BB4_323 Depth=3
	v_bfe_u32 v47, v4, 16, 7
	v_mov_b32_e32 v44, 0x7f800001
	s_mov_b32 s20, exec_lo
	s_delay_alu instid0(VALU_DEP_2)
	v_cmpx_ne_u32_e32 0x7f, v47
	s_cbranch_execz .LBB4_391
; %bb.388:                              ;   in Loop: Header=BB4_323 Depth=3
	v_dual_mov_b32 v45, v65 :: v_dual_bitop2_b32 v44, 7, v5 bitop3:0x40
	v_lshrrev_b32_e32 v46, 3, v47
	s_mov_b32 s21, exec_lo
	v_cmpx_gt_u32_e32 8, v47
; %bb.389:                              ;   in Loop: Header=BB4_323 Depth=3
	s_delay_alu instid0(VALU_DEP_3) | instskip(NEXT) | instid1(VALU_DEP_1)
	v_clz_i32_u32_e32 v46, v44
	v_min_u32_e32 v46, 32, v46
	s_delay_alu instid0(VALU_DEP_1) | instskip(NEXT) | instid1(VALU_DEP_1)
	v_subrev_nc_u32_e32 v47, 28, v46
	v_lshlrev_b64_e32 v[44:45], v47, v[44:45]
	s_delay_alu instid0(VALU_DEP_1)
	v_dual_sub_nc_u32 v46, 29, v46 :: v_dual_bitop2_b32 v44, 7, v44 bitop3:0x40
; %bb.390:                              ;   in Loop: Header=BB4_323 Depth=3
	s_or_b32 exec_lo, exec_lo, s21
	s_delay_alu instid0(VALU_DEP_1) | instskip(NEXT) | instid1(VALU_DEP_2)
	v_dual_lshlrev_b32 v5, 24, v5 :: v_dual_lshlrev_b32 v44, 20, v44
	v_lshl_add_u32 v45, v46, 23, 0x3c000000
	s_delay_alu instid0(VALU_DEP_2) | instskip(NEXT) | instid1(VALU_DEP_1)
	v_and_b32_e32 v5, 0x80000000, v5
	v_or3_b32 v44, v44, v5, v45
.LBB4_391:                              ;   in Loop: Header=BB4_323 Depth=3
	s_or_b32 exec_lo, exec_lo, s20
.LBB4_392:                              ;   in Loop: Header=BB4_323 Depth=3
	s_delay_alu instid0(SALU_CYCLE_1)
	s_or_b32 exec_lo, exec_lo, s19
.LBB4_393:                              ;   in Loop: Header=BB4_323 Depth=3
	s_delay_alu instid0(SALU_CYCLE_1) | instskip(NEXT) | instid1(VALU_DEP_1)
	s_or_b32 exec_lo, exec_lo, s8
	v_dual_mul_f32 v44, v30, v44 :: v_dual_mov_b32 v47, v65
                                        ; implicit-def: $vgpr76
	s_mov_b32 s8, exec_lo
	s_delay_alu instid0(VALU_DEP_1) | instskip(SKIP_1) | instid1(VALU_DEP_2)
	v_and_b32_e32 v46, 0x7f800000, v44
	v_lshrrev_b32_e32 v5, 24, v44
	v_cmpx_ne_u64_e32 0x7f800000, v[46:47]
	s_xor_b32 s19, exec_lo, s8
	s_cbranch_execz .LBB4_407
; %bb.394:                              ;   in Loop: Header=BB4_323 Depth=3
	v_and_b32_e32 v46, 0x7fffffff, v44
	v_mov_b32_e32 v47, v65
	v_and_b32_e32 v5, 0x80, v5
                                        ; implicit-def: $vgpr76
	s_mov_b32 s8, exec_lo
	s_delay_alu instid0(VALU_DEP_2)
	v_cmpx_gt_u64_e32 0x43e00001, v[46:47]
	s_xor_b32 s20, exec_lo, s8
	s_cbranch_execz .LBB4_404
; %bb.395:                              ;   in Loop: Header=BB4_323 Depth=3
	v_mov_b32_e32 v76, 0
	s_mov_b32 s21, exec_lo
	v_cmpx_ne_u32_e32 0, v44
	s_cbranch_execz .LBB4_403
; %bb.396:                              ;   in Loop: Header=BB4_323 Depth=3
	v_bfe_u32 v75, v44, 23, 8
	v_and_b32_e32 v46, 0x7fffff, v44
	s_mov_b32 s22, exec_lo
	s_delay_alu instid0(VALU_DEP_2) | instskip(NEXT) | instid1(VALU_DEP_2)
	v_cmp_gt_u32_e32 vcc_lo, 0x7a, v75
	v_or_b32_e32 v47, 0x800000, v46
	v_sub_nc_u32_e32 v45, 0x79, v75
	s_delay_alu instid0(VALU_DEP_1) | instskip(SKIP_1) | instid1(VALU_DEP_2)
	v_cndmask_b32_e32 v45, 0, v45, vcc_lo
	v_cmp_eq_u32_e32 vcc_lo, 0, v75
	v_cndmask_b32_e64 v76, v45, 0x78, vcc_lo
	v_dual_cndmask_b32 v46, v47, v46 :: v_dual_mov_b32 v47, v65
	s_delay_alu instid0(VALU_DEP_2) | instskip(NEXT) | instid1(VALU_DEP_1)
	v_dual_add_nc_u32 v77, 19, v76 :: v_dual_add_nc_u32 v44, 20, v76
	v_lshlrev_b64_e64 v[78:79], v77, 1
	s_delay_alu instid0(VALU_DEP_2) | instskip(NEXT) | instid1(VALU_DEP_1)
	v_lshlrev_b64_e64 v[44:45], v44, -1
	v_bfi_b32 v89, v45, 0, 0
	s_delay_alu instid0(VALU_DEP_2) | instskip(SKIP_1) | instid1(VALU_DEP_1)
	v_bfi_b32 v88, v44, 0, v46
	v_lshrrev_b64 v[44:45], v76, v[46:47]
	v_mov_b64_e32 v[46:47], v[44:45]
	s_delay_alu instid0(VALU_DEP_3)
	v_cmpx_eq_u64_e64 v[88:89], v[78:79]
; %bb.397:                              ;   in Loop: Header=BB4_323 Depth=3
	v_bfe_u32 v46, v44, 20, 1
	v_mov_b32_e32 v47, v65
	s_delay_alu instid0(VALU_DEP_1) | instskip(NEXT) | instid1(VALU_DEP_1)
	v_add_nc_u64_e32 v[46:47], v[44:45], v[46:47]
	v_add_nc_u64_e32 v[46:47], -1, v[46:47]
; %bb.398:                              ;   in Loop: Header=BB4_323 Depth=3
	s_or_b32 exec_lo, exec_lo, s22
	v_add_nc_u32_e32 v45, 0xffffff81, v75
	v_lshrrev_b32_e32 v47, 23, v44
	s_mov_b32 s8, exec_lo
	s_delay_alu instid0(VALU_DEP_2) | instskip(NEXT) | instid1(VALU_DEP_1)
	v_cndmask_b32_e64 v45, v45, 0xffffff82, vcc_lo
	v_add3_u32 v47, v76, v45, v47
	v_and_b32_e32 v45, 0xfffff, v46
                                        ; implicit-def: $vgpr46
	s_delay_alu instid0(VALU_DEP_1) | instskip(SKIP_1) | instid1(VALU_DEP_2)
	v_dual_add_nc_u32 v75, 6, v47 :: v_dual_add_nc_u32 v44, v45, v44
	v_mov_b32_e32 v45, v65
	v_cmpx_ne_u32_e32 0, v75
	s_xor_b32 s8, exec_lo, s8
; %bb.399:                              ;   in Loop: Header=BB4_323 Depth=3
	s_delay_alu instid0(VALU_DEP_2) | instskip(SKIP_2) | instid1(VALU_DEP_2)
	v_cmp_lt_u64_e32 vcc_lo, 0xffffff, v[44:45]
	v_add_nc_u32_e32 v46, 7, v47
	v_cndmask_b32_e64 v47, 0, 1, vcc_lo
	v_cndmask_b32_e32 v46, v75, v46, vcc_lo
	s_delay_alu instid0(VALU_DEP_2)
	v_lshrrev_b64 v[44:45], v47, v[44:45]
; %bb.400:                              ;   in Loop: Header=BB4_323 Depth=3
	s_and_not1_saveexec_b32 s8, s8
; %bb.401:                              ;   in Loop: Header=BB4_323 Depth=3
	s_delay_alu instid0(VALU_DEP_1)
	v_bfe_u32 v46, v44, 23, 1
; %bb.402:                              ;   in Loop: Header=BB4_323 Depth=3
	s_or_b32 exec_lo, exec_lo, s8
	s_delay_alu instid0(VALU_DEP_2) | instskip(NEXT) | instid1(VALU_DEP_2)
	v_lshrrev_b64 v[44:45], 20, v[44:45]
	v_cmp_gt_i32_e32 vcc_lo, 16, v46
	v_min_i32_e32 v47, 15, v46
	v_cmp_eq_u32_e64 s8, 0, v46
	s_delay_alu instid0(VALU_DEP_2) | instskip(SKIP_1) | instid1(VALU_DEP_2)
	v_dual_cndmask_b32 v45, 0, v45, vcc_lo :: v_dual_lshlrev_b32 v47, 3, v47
	v_cndmask_b32_e32 v44, 7, v44, vcc_lo
	v_and_b32_e32 v47, 0xf8, v47
	s_delay_alu instid0(VALU_DEP_2) | instskip(NEXT) | instid1(VALU_DEP_2)
	v_cmp_eq_u64_e32 vcc_lo, 0, v[44:45]
	v_and_or_b32 v44, v44, 7, v47
	s_and_b32 s8, s8, vcc_lo
	s_delay_alu instid0(VALU_DEP_1) | instid1(SALU_CYCLE_1)
	v_cndmask_b32_e64 v44, v44, 0, s8
	s_delay_alu instid0(VALU_DEP_1)
	v_or_b32_e32 v76, v44, v5
.LBB4_403:                              ;   in Loop: Header=BB4_323 Depth=3
	s_or_b32 exec_lo, exec_lo, s21
                                        ; implicit-def: $vgpr5
.LBB4_404:                              ;   in Loop: Header=BB4_323 Depth=3
	s_and_not1_saveexec_b32 s8, s20
; %bb.405:                              ;   in Loop: Header=BB4_323 Depth=3
	v_or_b32_e32 v76, 0x7e, v5
; %bb.406:                              ;   in Loop: Header=BB4_323 Depth=3
	s_or_b32 exec_lo, exec_lo, s8
                                        ; implicit-def: $vgpr5
.LBB4_407:                              ;   in Loop: Header=BB4_323 Depth=3
	s_and_not1_saveexec_b32 s8, s19
; %bb.408:                              ;   in Loop: Header=BB4_323 Depth=3
	v_or_b32_e32 v76, 0x7f, v5
; %bb.409:                              ;   in Loop: Header=BB4_323 Depth=3
	s_or_b32 exec_lo, exec_lo, s8
	v_mov_b32_e32 v5, 0
	s_mov_b32 s8, exec_lo
	v_cmpx_lt_u32_e32 0xffffff, v4
	s_cbranch_execz .LBB4_417
; %bb.410:                              ;   in Loop: Header=BB4_323 Depth=3
	v_lshrrev_b32_e32 v44, 24, v4
	v_bfrev_b32_e32 v5, 1
	s_mov_b32 s19, exec_lo
	s_delay_alu instid0(VALU_DEP_2)
	v_cmpx_ne_u32_e32 0x80, v44
	s_cbranch_execz .LBB4_416
; %bb.411:                              ;   in Loop: Header=BB4_323 Depth=3
	v_bfe_u32 v46, v4, 24, 7
	v_mov_b32_e32 v5, 0x7f800001
	s_mov_b32 s20, exec_lo
	s_delay_alu instid0(VALU_DEP_2)
	v_cmpx_ne_u32_e32 0x7f, v46
	s_cbranch_execz .LBB4_415
; %bb.412:                              ;   in Loop: Header=BB4_323 Depth=3
	v_dual_mov_b32 v5, v65 :: v_dual_bitop2_b32 v4, 7, v44 bitop3:0x40
	v_lshrrev_b32_e32 v45, 3, v46
	s_mov_b32 s21, exec_lo
	v_cmpx_gt_u32_e32 8, v46
; %bb.413:                              ;   in Loop: Header=BB4_323 Depth=3
	s_delay_alu instid0(VALU_DEP_3) | instskip(NEXT) | instid1(VALU_DEP_1)
	v_clz_i32_u32_e32 v45, v4
	v_min_u32_e32 v45, 32, v45
	s_delay_alu instid0(VALU_DEP_1) | instskip(NEXT) | instid1(VALU_DEP_1)
	v_subrev_nc_u32_e32 v46, 28, v45
	v_lshlrev_b64_e32 v[4:5], v46, v[4:5]
	s_delay_alu instid0(VALU_DEP_1)
	v_dual_sub_nc_u32 v45, 29, v45 :: v_dual_bitop2_b32 v4, 7, v4 bitop3:0x40
; %bb.414:                              ;   in Loop: Header=BB4_323 Depth=3
	s_or_b32 exec_lo, exec_lo, s21
	v_lshlrev_b32_e32 v5, 24, v44
	s_delay_alu instid0(VALU_DEP_2) | instskip(NEXT) | instid1(VALU_DEP_3)
	v_lshlrev_b32_e32 v4, 20, v4
	v_lshl_add_u32 v44, v45, 23, 0x3c000000
	s_delay_alu instid0(VALU_DEP_3) | instskip(NEXT) | instid1(VALU_DEP_1)
	v_and_b32_e32 v5, 0x80000000, v5
	v_or3_b32 v5, v4, v5, v44
.LBB4_415:                              ;   in Loop: Header=BB4_323 Depth=3
	s_or_b32 exec_lo, exec_lo, s20
.LBB4_416:                              ;   in Loop: Header=BB4_323 Depth=3
	s_delay_alu instid0(SALU_CYCLE_1)
	s_or_b32 exec_lo, exec_lo, s19
.LBB4_417:                              ;   in Loop: Header=BB4_323 Depth=3
	s_delay_alu instid0(SALU_CYCLE_1) | instskip(NEXT) | instid1(VALU_DEP_1)
	s_or_b32 exec_lo, exec_lo, s8
	v_dual_mul_f32 v4, v30, v5 :: v_dual_mov_b32 v45, v65
                                        ; implicit-def: $vgpr77
	s_mov_b32 s8, exec_lo
	s_delay_alu instid0(VALU_DEP_1) | instskip(SKIP_1) | instid1(VALU_DEP_2)
	v_and_b32_e32 v44, 0x7f800000, v4
	v_lshrrev_b32_e32 v5, 24, v4
	v_cmpx_ne_u64_e32 0x7f800000, v[44:45]
	s_xor_b32 s19, exec_lo, s8
	s_cbranch_execz .LBB4_431
; %bb.418:                              ;   in Loop: Header=BB4_323 Depth=3
	v_and_b32_e32 v44, 0x7fffffff, v4
	v_mov_b32_e32 v45, v65
	v_and_b32_e32 v46, 0x80, v5
                                        ; implicit-def: $vgpr77
	s_mov_b32 s8, exec_lo
	s_delay_alu instid0(VALU_DEP_2)
	v_cmpx_gt_u64_e32 0x43e00001, v[44:45]
	s_xor_b32 s20, exec_lo, s8
	s_cbranch_execz .LBB4_428
; %bb.419:                              ;   in Loop: Header=BB4_323 Depth=3
	v_mov_b32_e32 v77, 0
	s_mov_b32 s21, exec_lo
	v_cmpx_ne_u32_e32 0, v4
	s_cbranch_execz .LBB4_427
; %bb.420:                              ;   in Loop: Header=BB4_323 Depth=3
	v_bfe_u32 v47, v4, 23, 8
	v_and_b32_e32 v44, 0x7fffff, v4
	s_mov_b32 s22, exec_lo
	s_delay_alu instid0(VALU_DEP_2) | instskip(NEXT) | instid1(VALU_DEP_2)
	v_cmp_gt_u32_e32 vcc_lo, 0x7a, v47
	v_or_b32_e32 v45, 0x800000, v44
	v_sub_nc_u32_e32 v5, 0x79, v47
	s_delay_alu instid0(VALU_DEP_1) | instskip(SKIP_1) | instid1(VALU_DEP_2)
	v_cndmask_b32_e32 v5, 0, v5, vcc_lo
	v_cmp_eq_u32_e32 vcc_lo, 0, v47
	v_cndmask_b32_e64 v75, v5, 0x78, vcc_lo
	v_cndmask_b32_e32 v44, v45, v44, vcc_lo
	s_delay_alu instid0(VALU_DEP_2) | instskip(SKIP_1) | instid1(VALU_DEP_2)
	v_dual_mov_b32 v45, v65 :: v_dual_add_nc_u32 v77, 19, v75
	v_add_nc_u32_e32 v4, 20, v75
	v_lshlrev_b64_e64 v[78:79], v77, 1
	s_delay_alu instid0(VALU_DEP_2) | instskip(NEXT) | instid1(VALU_DEP_1)
	v_lshlrev_b64_e64 v[4:5], v4, -1
	v_bfi_b32 v89, v5, 0, 0
	s_delay_alu instid0(VALU_DEP_2) | instskip(SKIP_1) | instid1(VALU_DEP_1)
	v_bfi_b32 v88, v4, 0, v44
	v_lshrrev_b64 v[4:5], v75, v[44:45]
	v_mov_b64_e32 v[44:45], v[4:5]
	s_delay_alu instid0(VALU_DEP_3)
	v_cmpx_eq_u64_e64 v[88:89], v[78:79]
; %bb.421:                              ;   in Loop: Header=BB4_323 Depth=3
	v_bfe_u32 v44, v4, 20, 1
	v_mov_b32_e32 v45, v65
	s_delay_alu instid0(VALU_DEP_1) | instskip(NEXT) | instid1(VALU_DEP_1)
	v_add_nc_u64_e32 v[44:45], v[4:5], v[44:45]
	v_add_nc_u64_e32 v[44:45], -1, v[44:45]
; %bb.422:                              ;   in Loop: Header=BB4_323 Depth=3
	s_or_b32 exec_lo, exec_lo, s22
	v_add_nc_u32_e32 v5, 0xffffff81, v47
	v_lshrrev_b32_e32 v45, 23, v4
	s_mov_b32 s8, exec_lo
	s_delay_alu instid0(VALU_DEP_2) | instskip(NEXT) | instid1(VALU_DEP_1)
	v_cndmask_b32_e64 v5, v5, 0xffffff82, vcc_lo
	v_add3_u32 v45, v75, v5, v45
	v_and_b32_e32 v5, 0xfffff, v44
                                        ; implicit-def: $vgpr44
	s_delay_alu instid0(VALU_DEP_1) | instskip(SKIP_1) | instid1(VALU_DEP_2)
	v_dual_add_nc_u32 v47, 6, v45 :: v_dual_add_nc_u32 v4, v5, v4
	v_mov_b32_e32 v5, v65
	v_cmpx_ne_u32_e32 0, v47
	s_xor_b32 s8, exec_lo, s8
; %bb.423:                              ;   in Loop: Header=BB4_323 Depth=3
	s_delay_alu instid0(VALU_DEP_2) | instskip(SKIP_2) | instid1(VALU_DEP_2)
	v_cmp_lt_u64_e32 vcc_lo, 0xffffff, v[4:5]
	v_add_nc_u32_e32 v44, 7, v45
	v_cndmask_b32_e64 v45, 0, 1, vcc_lo
	v_cndmask_b32_e32 v44, v47, v44, vcc_lo
	s_delay_alu instid0(VALU_DEP_2)
	v_lshrrev_b64 v[4:5], v45, v[4:5]
; %bb.424:                              ;   in Loop: Header=BB4_323 Depth=3
	s_and_not1_saveexec_b32 s8, s8
; %bb.425:                              ;   in Loop: Header=BB4_323 Depth=3
	s_delay_alu instid0(VALU_DEP_1)
	v_bfe_u32 v44, v4, 23, 1
; %bb.426:                              ;   in Loop: Header=BB4_323 Depth=3
	s_or_b32 exec_lo, exec_lo, s8
	s_delay_alu instid0(VALU_DEP_2) | instskip(NEXT) | instid1(VALU_DEP_2)
	v_lshrrev_b64 v[4:5], 20, v[4:5]
	v_cmp_gt_i32_e32 vcc_lo, 16, v44
	v_min_i32_e32 v45, 15, v44
	v_cmp_eq_u32_e64 s8, 0, v44
	s_delay_alu instid0(VALU_DEP_4) | instskip(NEXT) | instid1(VALU_DEP_3)
	v_cndmask_b32_e32 v5, 0, v5, vcc_lo
	v_dual_cndmask_b32 v4, 7, v4 :: v_dual_lshlrev_b32 v45, 3, v45
	s_delay_alu instid0(VALU_DEP_1) | instskip(NEXT) | instid1(VALU_DEP_2)
	v_and_b32_e32 v45, 0xf8, v45
	v_cmp_eq_u64_e32 vcc_lo, 0, v[4:5]
	s_delay_alu instid0(VALU_DEP_2)
	v_and_or_b32 v4, v4, 7, v45
	s_and_b32 s8, s8, vcc_lo
	s_delay_alu instid0(VALU_DEP_1) | instid1(SALU_CYCLE_1)
	v_cndmask_b32_e64 v4, v4, 0, s8
	s_delay_alu instid0(VALU_DEP_1)
	v_or_b32_e32 v77, v4, v46
.LBB4_427:                              ;   in Loop: Header=BB4_323 Depth=3
	s_or_b32 exec_lo, exec_lo, s21
                                        ; implicit-def: $vgpr46
.LBB4_428:                              ;   in Loop: Header=BB4_323 Depth=3
	s_and_not1_saveexec_b32 s8, s20
; %bb.429:                              ;   in Loop: Header=BB4_323 Depth=3
	v_or_b32_e32 v77, 0x7e, v46
; %bb.430:                              ;   in Loop: Header=BB4_323 Depth=3
	s_or_b32 exec_lo, exec_lo, s8
                                        ; implicit-def: $vgpr5
.LBB4_431:                              ;   in Loop: Header=BB4_323 Depth=3
	s_and_not1_saveexec_b32 s8, s19
; %bb.432:                              ;   in Loop: Header=BB4_323 Depth=3
	v_or_b32_e32 v77, 0x7f, v5
; %bb.433:                              ;   in Loop: Header=BB4_323 Depth=3
	s_or_b32 exec_lo, exec_lo, s8
	v_alignbit_b32 v4, v63, v73, v74
	v_dual_mov_b32 v5, v65 :: v_dual_mov_b32 v44, 0
	s_mov_b32 s8, exec_lo
	s_delay_alu instid0(VALU_DEP_2) | instskip(NEXT) | instid1(VALU_DEP_1)
	v_and_b32_e32 v45, 0xff, v4
	v_cmpx_ne_u16_e32 0, v45
	s_cbranch_execz .LBB4_439
; %bb.434:                              ;   in Loop: Header=BB4_323 Depth=3
	v_bfrev_b32_e32 v44, 1
	s_mov_b32 s19, exec_lo
	v_cmpx_ne_u16_e32 0x80, v45
	s_cbranch_execz .LBB4_438
; %bb.435:                              ;   in Loop: Header=BB4_323 Depth=3
	v_and_b32_e32 v45, 0x7f, v4
	v_mov_b32_e32 v44, 0x7f800001
	s_mov_b32 s20, exec_lo
	s_delay_alu instid0(VALU_DEP_2)
	v_cmpx_ne_u32_e32 0x7f, v45
	s_cbranch_execz .LBB4_437
; %bb.436:                              ;   in Loop: Header=BB4_323 Depth=3
	v_dual_lshrrev_b32 v46, 3, v45 :: v_dual_bitop2_b32 v44, 7, v4 bitop3:0x40
	v_cmp_gt_u32_e32 vcc_lo, 8, v45
	s_delay_alu instid0(VALU_DEP_2) | instskip(NEXT) | instid1(VALU_DEP_1)
	v_clz_i32_u32_e32 v44, v44
	v_min_u32_e32 v44, 32, v44
	s_delay_alu instid0(VALU_DEP_1) | instskip(SKIP_1) | instid1(VALU_DEP_1)
	v_subrev_nc_u32_e32 v47, 28, v44
	v_sub_nc_u32_e32 v44, 29, v44
	v_dual_cndmask_b32 v46, v46, v44, vcc_lo :: v_dual_cndmask_b32 v44, 0, v47, vcc_lo
	s_delay_alu instid0(VALU_DEP_1) | instskip(SKIP_1) | instid1(VALU_DEP_3)
	v_lshlrev_b64_e32 v[44:45], v44, v[4:5]
	v_lshlrev_b32_e32 v5, 24, v4
	v_lshl_add_u32 v45, v46, 23, 0x3c000000
	s_delay_alu instid0(VALU_DEP_2) | instskip(NEXT) | instid1(VALU_DEP_4)
	v_and_b32_e32 v5, 0x80000000, v5
	v_lshlrev_b32_e32 v44, 20, v44
	s_delay_alu instid0(VALU_DEP_1) | instskip(NEXT) | instid1(VALU_DEP_1)
	v_and_b32_e32 v44, 0x700000, v44
	v_or3_b32 v44, v44, v5, v45
.LBB4_437:                              ;   in Loop: Header=BB4_323 Depth=3
	s_or_b32 exec_lo, exec_lo, s20
.LBB4_438:                              ;   in Loop: Header=BB4_323 Depth=3
	s_delay_alu instid0(SALU_CYCLE_1)
	s_or_b32 exec_lo, exec_lo, s19
.LBB4_439:                              ;   in Loop: Header=BB4_323 Depth=3
	s_delay_alu instid0(SALU_CYCLE_1) | instskip(NEXT) | instid1(VALU_DEP_1)
	s_or_b32 exec_lo, exec_lo, s8
	v_dual_mul_f32 v44, v30, v44 :: v_dual_mov_b32 v47, v65
                                        ; implicit-def: $vgpr63
	s_mov_b32 s8, exec_lo
	s_delay_alu instid0(VALU_DEP_1) | instskip(SKIP_1) | instid1(VALU_DEP_2)
	v_and_b32_e32 v46, 0x7f800000, v44
	v_lshrrev_b32_e32 v5, 24, v44
	v_cmpx_ne_u64_e32 0x7f800000, v[46:47]
	s_xor_b32 s19, exec_lo, s8
	s_cbranch_execz .LBB4_453
; %bb.440:                              ;   in Loop: Header=BB4_323 Depth=3
	v_and_b32_e32 v46, 0x7fffffff, v44
	v_mov_b32_e32 v47, v65
	v_and_b32_e32 v5, 0x80, v5
                                        ; implicit-def: $vgpr63
	s_mov_b32 s8, exec_lo
	s_delay_alu instid0(VALU_DEP_2)
	v_cmpx_gt_u64_e32 0x43e00001, v[46:47]
	s_xor_b32 s20, exec_lo, s8
	s_cbranch_execz .LBB4_450
; %bb.441:                              ;   in Loop: Header=BB4_323 Depth=3
	v_mov_b32_e32 v63, 0
	s_mov_b32 s21, exec_lo
	v_cmpx_ne_u32_e32 0, v44
	s_cbranch_execz .LBB4_449
; %bb.442:                              ;   in Loop: Header=BB4_323 Depth=3
	v_bfe_u32 v63, v44, 23, 8
	v_and_b32_e32 v46, 0x7fffff, v44
	s_mov_b32 s22, exec_lo
	s_delay_alu instid0(VALU_DEP_2) | instskip(NEXT) | instid1(VALU_DEP_2)
	v_cmp_gt_u32_e32 vcc_lo, 0x7a, v63
	v_or_b32_e32 v47, 0x800000, v46
	v_sub_nc_u32_e32 v45, 0x79, v63
	s_delay_alu instid0(VALU_DEP_1) | instskip(SKIP_1) | instid1(VALU_DEP_4)
	v_cndmask_b32_e32 v45, 0, v45, vcc_lo
	v_cmp_eq_u32_e32 vcc_lo, 0, v63
	v_dual_cndmask_b32 v46, v47, v46 :: v_dual_mov_b32 v47, v65
	s_delay_alu instid0(VALU_DEP_3) | instskip(NEXT) | instid1(VALU_DEP_1)
	v_cndmask_b32_e64 v73, v45, 0x78, vcc_lo
	v_dual_add_nc_u32 v44, 20, v73 :: v_dual_add_nc_u32 v74, 19, v73
	s_delay_alu instid0(VALU_DEP_1) | instskip(NEXT) | instid1(VALU_DEP_2)
	v_lshlrev_b64_e64 v[44:45], v44, -1
	v_lshlrev_b64_e64 v[74:75], v74, 1
	s_delay_alu instid0(VALU_DEP_2) | instskip(NEXT) | instid1(VALU_DEP_3)
	v_bfi_b32 v79, v45, 0, 0
	v_bfi_b32 v78, v44, 0, v46
	v_lshrrev_b64 v[44:45], v73, v[46:47]
	s_delay_alu instid0(VALU_DEP_1) | instskip(NEXT) | instid1(VALU_DEP_3)
	v_mov_b64_e32 v[46:47], v[44:45]
	v_cmpx_eq_u64_e64 v[78:79], v[74:75]
; %bb.443:                              ;   in Loop: Header=BB4_323 Depth=3
	v_bfe_u32 v46, v44, 20, 1
	v_mov_b32_e32 v47, v65
	s_delay_alu instid0(VALU_DEP_1) | instskip(NEXT) | instid1(VALU_DEP_1)
	v_add_nc_u64_e32 v[46:47], v[44:45], v[46:47]
	v_add_nc_u64_e32 v[46:47], -1, v[46:47]
; %bb.444:                              ;   in Loop: Header=BB4_323 Depth=3
	s_or_b32 exec_lo, exec_lo, s22
	v_add_nc_u32_e32 v45, 0xffffff81, v63
	v_lshrrev_b32_e32 v47, 23, v44
	s_mov_b32 s8, exec_lo
	s_delay_alu instid0(VALU_DEP_2) | instskip(NEXT) | instid1(VALU_DEP_1)
	v_cndmask_b32_e64 v45, v45, 0xffffff82, vcc_lo
	v_add3_u32 v47, v73, v45, v47
	v_and_b32_e32 v45, 0xfffff, v46
                                        ; implicit-def: $vgpr46
	s_delay_alu instid0(VALU_DEP_1) | instskip(SKIP_1) | instid1(VALU_DEP_2)
	v_dual_add_nc_u32 v63, 6, v47 :: v_dual_add_nc_u32 v44, v45, v44
	v_mov_b32_e32 v45, v65
	v_cmpx_ne_u32_e32 0, v63
	s_xor_b32 s8, exec_lo, s8
; %bb.445:                              ;   in Loop: Header=BB4_323 Depth=3
	s_delay_alu instid0(VALU_DEP_2) | instskip(SKIP_2) | instid1(VALU_DEP_2)
	v_cmp_lt_u64_e32 vcc_lo, 0xffffff, v[44:45]
	v_add_nc_u32_e32 v46, 7, v47
	v_cndmask_b32_e64 v47, 0, 1, vcc_lo
	v_cndmask_b32_e32 v46, v63, v46, vcc_lo
	s_delay_alu instid0(VALU_DEP_2)
	v_lshrrev_b64 v[44:45], v47, v[44:45]
; %bb.446:                              ;   in Loop: Header=BB4_323 Depth=3
	s_and_not1_saveexec_b32 s8, s8
; %bb.447:                              ;   in Loop: Header=BB4_323 Depth=3
	s_delay_alu instid0(VALU_DEP_1)
	v_bfe_u32 v46, v44, 23, 1
; %bb.448:                              ;   in Loop: Header=BB4_323 Depth=3
	s_or_b32 exec_lo, exec_lo, s8
	s_delay_alu instid0(VALU_DEP_2) | instskip(NEXT) | instid1(VALU_DEP_2)
	v_lshrrev_b64 v[44:45], 20, v[44:45]
	v_cmp_gt_i32_e32 vcc_lo, 16, v46
	v_min_i32_e32 v47, 15, v46
	v_cmp_eq_u32_e64 s8, 0, v46
	s_delay_alu instid0(VALU_DEP_2) | instskip(SKIP_1) | instid1(VALU_DEP_2)
	v_dual_cndmask_b32 v45, 0, v45, vcc_lo :: v_dual_lshlrev_b32 v47, 3, v47
	v_cndmask_b32_e32 v44, 7, v44, vcc_lo
	v_and_b32_e32 v47, 0xf8, v47
	s_delay_alu instid0(VALU_DEP_2) | instskip(NEXT) | instid1(VALU_DEP_2)
	v_cmp_eq_u64_e32 vcc_lo, 0, v[44:45]
	v_and_or_b32 v44, v44, 7, v47
	s_and_b32 s8, s8, vcc_lo
	s_delay_alu instid0(VALU_DEP_1) | instid1(SALU_CYCLE_1)
	v_cndmask_b32_e64 v44, v44, 0, s8
	s_delay_alu instid0(VALU_DEP_1)
	v_or_b32_e32 v63, v44, v5
.LBB4_449:                              ;   in Loop: Header=BB4_323 Depth=3
	s_or_b32 exec_lo, exec_lo, s21
                                        ; implicit-def: $vgpr5
.LBB4_450:                              ;   in Loop: Header=BB4_323 Depth=3
	s_and_not1_saveexec_b32 s8, s20
; %bb.451:                              ;   in Loop: Header=BB4_323 Depth=3
	v_or_b32_e32 v63, 0x7e, v5
; %bb.452:                              ;   in Loop: Header=BB4_323 Depth=3
	s_or_b32 exec_lo, exec_lo, s8
                                        ; implicit-def: $vgpr5
.LBB4_453:                              ;   in Loop: Header=BB4_323 Depth=3
	s_and_not1_saveexec_b32 s8, s19
; %bb.454:                              ;   in Loop: Header=BB4_323 Depth=3
	v_or_b32_e32 v63, 0x7f, v5
; %bb.455:                              ;   in Loop: Header=BB4_323 Depth=3
	s_or_b32 exec_lo, exec_lo, s8
	v_lshrrev_b16 v44, 8, v4
	v_mov_b32_e32 v5, 0
	s_mov_b32 s8, exec_lo
	s_delay_alu instid0(VALU_DEP_2)
	v_cmpx_ne_u16_e32 0, v44
	s_cbranch_execz .LBB4_463
; %bb.456:                              ;   in Loop: Header=BB4_323 Depth=3
	v_bfrev_b32_e32 v5, 1
	s_mov_b32 s19, exec_lo
	v_cmpx_ne_u16_e32 0x80, v44
	s_cbranch_execz .LBB4_462
; %bb.457:                              ;   in Loop: Header=BB4_323 Depth=3
	v_and_b32_e32 v44, 0xffff, v44
	v_mov_b32_e32 v5, 0x7f800001
	s_mov_b32 s20, exec_lo
	s_delay_alu instid0(VALU_DEP_2) | instskip(NEXT) | instid1(VALU_DEP_1)
	v_and_b32_e32 v46, 0x7f, v44
	v_cmpx_ne_u32_e32 0x7f, v46
	s_cbranch_execz .LBB4_461
; %bb.458:                              ;   in Loop: Header=BB4_323 Depth=3
	v_dual_mov_b32 v45, v65 :: v_dual_bitop2_b32 v44, 7, v44 bitop3:0x40
	v_lshrrev_b32_e32 v5, 3, v46
	s_mov_b32 s21, exec_lo
	v_cmpx_gt_u32_e32 8, v46
; %bb.459:                              ;   in Loop: Header=BB4_323 Depth=3
	s_delay_alu instid0(VALU_DEP_3) | instskip(NEXT) | instid1(VALU_DEP_1)
	v_clz_i32_u32_e32 v5, v44
	v_min_u32_e32 v5, 32, v5
	s_delay_alu instid0(VALU_DEP_1) | instskip(NEXT) | instid1(VALU_DEP_1)
	v_subrev_nc_u32_e32 v46, 28, v5
	v_lshlrev_b64_e32 v[44:45], v46, v[44:45]
	s_delay_alu instid0(VALU_DEP_1)
	v_dual_sub_nc_u32 v5, 29, v5 :: v_dual_bitop2_b32 v44, 7, v44 bitop3:0x40
; %bb.460:                              ;   in Loop: Header=BB4_323 Depth=3
	s_or_b32 exec_lo, exec_lo, s21
	v_lshlrev_b32_e32 v45, 16, v4
	s_delay_alu instid0(VALU_DEP_2) | instskip(NEXT) | instid1(VALU_DEP_3)
	v_lshlrev_b32_e32 v44, 20, v44
	v_lshl_add_u32 v5, v5, 23, 0x3c000000
	s_delay_alu instid0(VALU_DEP_3) | instskip(NEXT) | instid1(VALU_DEP_1)
	v_and_b32_e32 v45, 0x80000000, v45
	v_or3_b32 v5, v44, v45, v5
.LBB4_461:                              ;   in Loop: Header=BB4_323 Depth=3
	s_or_b32 exec_lo, exec_lo, s20
.LBB4_462:                              ;   in Loop: Header=BB4_323 Depth=3
	s_delay_alu instid0(SALU_CYCLE_1)
	s_or_b32 exec_lo, exec_lo, s19
.LBB4_463:                              ;   in Loop: Header=BB4_323 Depth=3
	s_delay_alu instid0(SALU_CYCLE_1) | instskip(NEXT) | instid1(VALU_DEP_1)
	s_or_b32 exec_lo, exec_lo, s8
	v_dual_mul_f32 v44, v30, v5 :: v_dual_mov_b32 v47, v65
                                        ; implicit-def: $vgpr73
	s_mov_b32 s8, exec_lo
	s_delay_alu instid0(VALU_DEP_1) | instskip(SKIP_1) | instid1(VALU_DEP_2)
	v_and_b32_e32 v46, 0x7f800000, v44
	v_lshrrev_b32_e32 v5, 24, v44
	v_cmpx_ne_u64_e32 0x7f800000, v[46:47]
	s_xor_b32 s19, exec_lo, s8
	s_cbranch_execz .LBB4_477
; %bb.464:                              ;   in Loop: Header=BB4_323 Depth=3
	v_and_b32_e32 v46, 0x7fffffff, v44
	v_mov_b32_e32 v47, v65
	v_and_b32_e32 v5, 0x80, v5
                                        ; implicit-def: $vgpr73
	s_mov_b32 s8, exec_lo
	s_delay_alu instid0(VALU_DEP_2)
	v_cmpx_gt_u64_e32 0x43e00001, v[46:47]
	s_xor_b32 s20, exec_lo, s8
	s_cbranch_execz .LBB4_474
; %bb.465:                              ;   in Loop: Header=BB4_323 Depth=3
	v_mov_b32_e32 v73, 0
	s_mov_b32 s21, exec_lo
	v_cmpx_ne_u32_e32 0, v44
	s_cbranch_execz .LBB4_473
; %bb.466:                              ;   in Loop: Header=BB4_323 Depth=3
	v_bfe_u32 v73, v44, 23, 8
	v_and_b32_e32 v46, 0x7fffff, v44
	s_mov_b32 s22, exec_lo
	s_delay_alu instid0(VALU_DEP_2) | instskip(NEXT) | instid1(VALU_DEP_2)
	v_cmp_gt_u32_e32 vcc_lo, 0x7a, v73
	v_or_b32_e32 v47, 0x800000, v46
	v_sub_nc_u32_e32 v45, 0x79, v73
	s_delay_alu instid0(VALU_DEP_1) | instskip(SKIP_1) | instid1(VALU_DEP_2)
	v_cndmask_b32_e32 v45, 0, v45, vcc_lo
	v_cmp_eq_u32_e32 vcc_lo, 0, v73
	v_cndmask_b32_e64 v74, v45, 0x78, vcc_lo
	v_dual_cndmask_b32 v46, v47, v46 :: v_dual_mov_b32 v47, v65
	s_delay_alu instid0(VALU_DEP_2) | instskip(NEXT) | instid1(VALU_DEP_1)
	v_dual_add_nc_u32 v75, 19, v74 :: v_dual_add_nc_u32 v44, 20, v74
	v_lshlrev_b64_e64 v[78:79], v75, 1
	s_delay_alu instid0(VALU_DEP_2) | instskip(NEXT) | instid1(VALU_DEP_1)
	v_lshlrev_b64_e64 v[44:45], v44, -1
	v_bfi_b32 v89, v45, 0, 0
	s_delay_alu instid0(VALU_DEP_2) | instskip(SKIP_1) | instid1(VALU_DEP_1)
	v_bfi_b32 v88, v44, 0, v46
	v_lshrrev_b64 v[44:45], v74, v[46:47]
	v_mov_b64_e32 v[46:47], v[44:45]
	s_delay_alu instid0(VALU_DEP_3)
	v_cmpx_eq_u64_e64 v[88:89], v[78:79]
; %bb.467:                              ;   in Loop: Header=BB4_323 Depth=3
	v_bfe_u32 v46, v44, 20, 1
	v_mov_b32_e32 v47, v65
	s_delay_alu instid0(VALU_DEP_1) | instskip(NEXT) | instid1(VALU_DEP_1)
	v_add_nc_u64_e32 v[46:47], v[44:45], v[46:47]
	v_add_nc_u64_e32 v[46:47], -1, v[46:47]
; %bb.468:                              ;   in Loop: Header=BB4_323 Depth=3
	s_or_b32 exec_lo, exec_lo, s22
	v_add_nc_u32_e32 v45, 0xffffff81, v73
	v_lshrrev_b32_e32 v47, 23, v44
	s_mov_b32 s8, exec_lo
	s_delay_alu instid0(VALU_DEP_2) | instskip(NEXT) | instid1(VALU_DEP_1)
	v_cndmask_b32_e64 v45, v45, 0xffffff82, vcc_lo
	v_add3_u32 v47, v74, v45, v47
	v_and_b32_e32 v45, 0xfffff, v46
                                        ; implicit-def: $vgpr46
	s_delay_alu instid0(VALU_DEP_1) | instskip(SKIP_1) | instid1(VALU_DEP_2)
	v_dual_add_nc_u32 v73, 6, v47 :: v_dual_add_nc_u32 v44, v45, v44
	v_mov_b32_e32 v45, v65
	v_cmpx_ne_u32_e32 0, v73
	s_xor_b32 s8, exec_lo, s8
; %bb.469:                              ;   in Loop: Header=BB4_323 Depth=3
	s_delay_alu instid0(VALU_DEP_2) | instskip(SKIP_2) | instid1(VALU_DEP_2)
	v_cmp_lt_u64_e32 vcc_lo, 0xffffff, v[44:45]
	v_add_nc_u32_e32 v46, 7, v47
	v_cndmask_b32_e64 v47, 0, 1, vcc_lo
	v_cndmask_b32_e32 v46, v73, v46, vcc_lo
	s_delay_alu instid0(VALU_DEP_2)
	v_lshrrev_b64 v[44:45], v47, v[44:45]
; %bb.470:                              ;   in Loop: Header=BB4_323 Depth=3
	s_and_not1_saveexec_b32 s8, s8
; %bb.471:                              ;   in Loop: Header=BB4_323 Depth=3
	s_delay_alu instid0(VALU_DEP_1)
	v_bfe_u32 v46, v44, 23, 1
; %bb.472:                              ;   in Loop: Header=BB4_323 Depth=3
	s_or_b32 exec_lo, exec_lo, s8
	s_delay_alu instid0(VALU_DEP_2) | instskip(NEXT) | instid1(VALU_DEP_2)
	v_lshrrev_b64 v[44:45], 20, v[44:45]
	v_cmp_gt_i32_e32 vcc_lo, 16, v46
	v_min_i32_e32 v47, 15, v46
	v_cmp_eq_u32_e64 s8, 0, v46
	s_delay_alu instid0(VALU_DEP_2) | instskip(SKIP_1) | instid1(VALU_DEP_2)
	v_dual_cndmask_b32 v45, 0, v45, vcc_lo :: v_dual_lshlrev_b32 v47, 3, v47
	v_cndmask_b32_e32 v44, 7, v44, vcc_lo
	v_and_b32_e32 v47, 0xf8, v47
	s_delay_alu instid0(VALU_DEP_2) | instskip(NEXT) | instid1(VALU_DEP_2)
	v_cmp_eq_u64_e32 vcc_lo, 0, v[44:45]
	v_and_or_b32 v44, v44, 7, v47
	s_and_b32 s8, s8, vcc_lo
	s_delay_alu instid0(VALU_DEP_1) | instid1(SALU_CYCLE_1)
	v_cndmask_b32_e64 v44, v44, 0, s8
	s_delay_alu instid0(VALU_DEP_1)
	v_or_b32_e32 v73, v44, v5
.LBB4_473:                              ;   in Loop: Header=BB4_323 Depth=3
	s_or_b32 exec_lo, exec_lo, s21
                                        ; implicit-def: $vgpr5
.LBB4_474:                              ;   in Loop: Header=BB4_323 Depth=3
	s_and_not1_saveexec_b32 s8, s20
; %bb.475:                              ;   in Loop: Header=BB4_323 Depth=3
	v_or_b32_e32 v73, 0x7e, v5
; %bb.476:                              ;   in Loop: Header=BB4_323 Depth=3
	s_or_b32 exec_lo, exec_lo, s8
                                        ; implicit-def: $vgpr5
.LBB4_477:                              ;   in Loop: Header=BB4_323 Depth=3
	s_and_not1_saveexec_b32 s8, s19
; %bb.478:                              ;   in Loop: Header=BB4_323 Depth=3
	v_or_b32_e32 v73, 0x7f, v5
; %bb.479:                              ;   in Loop: Header=BB4_323 Depth=3
	s_or_b32 exec_lo, exec_lo, s8
	v_dual_mov_b32 v44, 0 :: v_dual_lshrrev_b32 v5, 16, v4
	s_mov_b32 s8, exec_lo
	s_delay_alu instid0(VALU_DEP_1) | instskip(NEXT) | instid1(VALU_DEP_1)
	v_and_b32_e32 v45, 0xff, v5
	v_cmpx_ne_u16_e32 0, v45
	s_cbranch_execz .LBB4_487
; %bb.480:                              ;   in Loop: Header=BB4_323 Depth=3
	v_bfrev_b32_e32 v44, 1
	s_mov_b32 s19, exec_lo
	v_cmpx_ne_u16_e32 0x80, v45
	s_cbranch_execz .LBB4_486
; %bb.481:                              ;   in Loop: Header=BB4_323 Depth=3
	v_bfe_u32 v47, v4, 16, 7
	v_mov_b32_e32 v44, 0x7f800001
	s_mov_b32 s20, exec_lo
	s_delay_alu instid0(VALU_DEP_2)
	v_cmpx_ne_u32_e32 0x7f, v47
	s_cbranch_execz .LBB4_485
; %bb.482:                              ;   in Loop: Header=BB4_323 Depth=3
	v_dual_mov_b32 v45, v65 :: v_dual_bitop2_b32 v44, 7, v5 bitop3:0x40
	v_lshrrev_b32_e32 v46, 3, v47
	s_mov_b32 s21, exec_lo
	v_cmpx_gt_u32_e32 8, v47
; %bb.483:                              ;   in Loop: Header=BB4_323 Depth=3
	s_delay_alu instid0(VALU_DEP_3) | instskip(NEXT) | instid1(VALU_DEP_1)
	v_clz_i32_u32_e32 v46, v44
	v_min_u32_e32 v46, 32, v46
	s_delay_alu instid0(VALU_DEP_1) | instskip(NEXT) | instid1(VALU_DEP_1)
	v_subrev_nc_u32_e32 v47, 28, v46
	v_lshlrev_b64_e32 v[44:45], v47, v[44:45]
	s_delay_alu instid0(VALU_DEP_1)
	v_dual_sub_nc_u32 v46, 29, v46 :: v_dual_bitop2_b32 v44, 7, v44 bitop3:0x40
; %bb.484:                              ;   in Loop: Header=BB4_323 Depth=3
	s_or_b32 exec_lo, exec_lo, s21
	s_delay_alu instid0(VALU_DEP_1) | instskip(NEXT) | instid1(VALU_DEP_2)
	v_dual_lshlrev_b32 v5, 24, v5 :: v_dual_lshlrev_b32 v44, 20, v44
	v_lshl_add_u32 v45, v46, 23, 0x3c000000
	s_delay_alu instid0(VALU_DEP_2) | instskip(NEXT) | instid1(VALU_DEP_1)
	v_and_b32_e32 v5, 0x80000000, v5
	v_or3_b32 v44, v44, v5, v45
.LBB4_485:                              ;   in Loop: Header=BB4_323 Depth=3
	s_or_b32 exec_lo, exec_lo, s20
.LBB4_486:                              ;   in Loop: Header=BB4_323 Depth=3
	s_delay_alu instid0(SALU_CYCLE_1)
	s_or_b32 exec_lo, exec_lo, s19
.LBB4_487:                              ;   in Loop: Header=BB4_323 Depth=3
	s_delay_alu instid0(SALU_CYCLE_1) | instskip(NEXT) | instid1(VALU_DEP_1)
	s_or_b32 exec_lo, exec_lo, s8
	v_dual_mul_f32 v44, v30, v44 :: v_dual_mov_b32 v47, v65
                                        ; implicit-def: $vgpr74
	s_mov_b32 s8, exec_lo
	s_delay_alu instid0(VALU_DEP_1) | instskip(SKIP_1) | instid1(VALU_DEP_2)
	v_and_b32_e32 v46, 0x7f800000, v44
	v_lshrrev_b32_e32 v5, 24, v44
	v_cmpx_ne_u64_e32 0x7f800000, v[46:47]
	s_xor_b32 s19, exec_lo, s8
	s_cbranch_execz .LBB4_501
; %bb.488:                              ;   in Loop: Header=BB4_323 Depth=3
	v_and_b32_e32 v46, 0x7fffffff, v44
	v_mov_b32_e32 v47, v65
	v_and_b32_e32 v5, 0x80, v5
                                        ; implicit-def: $vgpr74
	s_mov_b32 s8, exec_lo
	s_delay_alu instid0(VALU_DEP_2)
	v_cmpx_gt_u64_e32 0x43e00001, v[46:47]
	s_xor_b32 s20, exec_lo, s8
	s_cbranch_execz .LBB4_498
; %bb.489:                              ;   in Loop: Header=BB4_323 Depth=3
	v_mov_b32_e32 v74, 0
	s_mov_b32 s21, exec_lo
	v_cmpx_ne_u32_e32 0, v44
	s_cbranch_execz .LBB4_497
; %bb.490:                              ;   in Loop: Header=BB4_323 Depth=3
	v_bfe_u32 v74, v44, 23, 8
	v_and_b32_e32 v46, 0x7fffff, v44
	s_mov_b32 s22, exec_lo
	s_delay_alu instid0(VALU_DEP_2) | instskip(SKIP_1) | instid1(VALU_DEP_3)
	v_sub_nc_u32_e32 v45, 0x79, v74
	v_cmp_gt_u32_e32 vcc_lo, 0x7a, v74
	v_or_b32_e32 v47, 0x800000, v46
	s_delay_alu instid0(VALU_DEP_3) | instskip(SKIP_1) | instid1(VALU_DEP_2)
	v_cndmask_b32_e32 v45, 0, v45, vcc_lo
	v_cmp_eq_u32_e32 vcc_lo, 0, v74
	v_cndmask_b32_e64 v75, v45, 0x78, vcc_lo
	s_delay_alu instid0(VALU_DEP_4) | instskip(NEXT) | instid1(VALU_DEP_2)
	v_dual_cndmask_b32 v46, v47, v46 :: v_dual_mov_b32 v47, v65
	v_dual_add_nc_u32 v44, 20, v75 :: v_dual_add_nc_u32 v78, 19, v75
	s_delay_alu instid0(VALU_DEP_1) | instskip(NEXT) | instid1(VALU_DEP_2)
	v_lshlrev_b64_e64 v[44:45], v44, -1
	v_lshlrev_b64_e64 v[78:79], v78, 1
	s_delay_alu instid0(VALU_DEP_2) | instskip(NEXT) | instid1(VALU_DEP_3)
	v_bfi_b32 v89, v45, 0, 0
	v_bfi_b32 v88, v44, 0, v46
	v_lshrrev_b64 v[44:45], v75, v[46:47]
	s_delay_alu instid0(VALU_DEP_1) | instskip(NEXT) | instid1(VALU_DEP_3)
	v_mov_b64_e32 v[46:47], v[44:45]
	v_cmpx_eq_u64_e64 v[88:89], v[78:79]
; %bb.491:                              ;   in Loop: Header=BB4_323 Depth=3
	v_bfe_u32 v46, v44, 20, 1
	v_mov_b32_e32 v47, v65
	s_delay_alu instid0(VALU_DEP_1) | instskip(NEXT) | instid1(VALU_DEP_1)
	v_add_nc_u64_e32 v[46:47], v[44:45], v[46:47]
	v_add_nc_u64_e32 v[46:47], -1, v[46:47]
; %bb.492:                              ;   in Loop: Header=BB4_323 Depth=3
	s_or_b32 exec_lo, exec_lo, s22
	v_add_nc_u32_e32 v45, 0xffffff81, v74
	v_lshrrev_b32_e32 v47, 23, v44
	s_mov_b32 s8, exec_lo
	s_delay_alu instid0(VALU_DEP_2) | instskip(NEXT) | instid1(VALU_DEP_1)
	v_cndmask_b32_e64 v45, v45, 0xffffff82, vcc_lo
	v_add3_u32 v47, v75, v45, v47
	v_and_b32_e32 v45, 0xfffff, v46
                                        ; implicit-def: $vgpr46
	s_delay_alu instid0(VALU_DEP_1) | instskip(SKIP_1) | instid1(VALU_DEP_2)
	v_dual_add_nc_u32 v74, 6, v47 :: v_dual_add_nc_u32 v44, v45, v44
	v_mov_b32_e32 v45, v65
	v_cmpx_ne_u32_e32 0, v74
	s_xor_b32 s8, exec_lo, s8
; %bb.493:                              ;   in Loop: Header=BB4_323 Depth=3
	s_delay_alu instid0(VALU_DEP_2) | instskip(SKIP_2) | instid1(VALU_DEP_2)
	v_cmp_lt_u64_e32 vcc_lo, 0xffffff, v[44:45]
	v_add_nc_u32_e32 v46, 7, v47
	v_cndmask_b32_e64 v47, 0, 1, vcc_lo
	v_cndmask_b32_e32 v46, v74, v46, vcc_lo
	s_delay_alu instid0(VALU_DEP_2)
	v_lshrrev_b64 v[44:45], v47, v[44:45]
; %bb.494:                              ;   in Loop: Header=BB4_323 Depth=3
	s_and_not1_saveexec_b32 s8, s8
; %bb.495:                              ;   in Loop: Header=BB4_323 Depth=3
	s_delay_alu instid0(VALU_DEP_1)
	v_bfe_u32 v46, v44, 23, 1
; %bb.496:                              ;   in Loop: Header=BB4_323 Depth=3
	s_or_b32 exec_lo, exec_lo, s8
	s_delay_alu instid0(VALU_DEP_2) | instskip(NEXT) | instid1(VALU_DEP_2)
	v_lshrrev_b64 v[44:45], 20, v[44:45]
	v_cmp_gt_i32_e32 vcc_lo, 16, v46
	v_min_i32_e32 v47, 15, v46
	v_cmp_eq_u32_e64 s8, 0, v46
	s_delay_alu instid0(VALU_DEP_2) | instskip(SKIP_1) | instid1(VALU_DEP_2)
	v_dual_cndmask_b32 v45, 0, v45, vcc_lo :: v_dual_lshlrev_b32 v47, 3, v47
	v_cndmask_b32_e32 v44, 7, v44, vcc_lo
	v_and_b32_e32 v47, 0xf8, v47
	s_delay_alu instid0(VALU_DEP_2) | instskip(NEXT) | instid1(VALU_DEP_2)
	v_cmp_eq_u64_e32 vcc_lo, 0, v[44:45]
	v_and_or_b32 v44, v44, 7, v47
	s_and_b32 s8, s8, vcc_lo
	s_delay_alu instid0(VALU_DEP_1) | instid1(SALU_CYCLE_1)
	v_cndmask_b32_e64 v44, v44, 0, s8
	s_delay_alu instid0(VALU_DEP_1)
	v_or_b32_e32 v74, v44, v5
.LBB4_497:                              ;   in Loop: Header=BB4_323 Depth=3
	s_or_b32 exec_lo, exec_lo, s21
                                        ; implicit-def: $vgpr5
.LBB4_498:                              ;   in Loop: Header=BB4_323 Depth=3
	s_and_not1_saveexec_b32 s8, s20
; %bb.499:                              ;   in Loop: Header=BB4_323 Depth=3
	v_or_b32_e32 v74, 0x7e, v5
; %bb.500:                              ;   in Loop: Header=BB4_323 Depth=3
	s_or_b32 exec_lo, exec_lo, s8
                                        ; implicit-def: $vgpr5
.LBB4_501:                              ;   in Loop: Header=BB4_323 Depth=3
	s_and_not1_saveexec_b32 s8, s19
; %bb.502:                              ;   in Loop: Header=BB4_323 Depth=3
	v_or_b32_e32 v74, 0x7f, v5
; %bb.503:                              ;   in Loop: Header=BB4_323 Depth=3
	s_or_b32 exec_lo, exec_lo, s8
	v_mov_b32_e32 v5, 0
	s_mov_b32 s8, exec_lo
	v_cmpx_lt_u32_e32 0xffffff, v4
	s_cbranch_execz .LBB4_511
; %bb.504:                              ;   in Loop: Header=BB4_323 Depth=3
	v_lshrrev_b32_e32 v44, 24, v4
	v_bfrev_b32_e32 v5, 1
	s_mov_b32 s19, exec_lo
	s_delay_alu instid0(VALU_DEP_2)
	v_cmpx_ne_u32_e32 0x80, v44
	s_cbranch_execz .LBB4_510
; %bb.505:                              ;   in Loop: Header=BB4_323 Depth=3
	v_bfe_u32 v46, v4, 24, 7
	v_mov_b32_e32 v5, 0x7f800001
	s_mov_b32 s20, exec_lo
	s_delay_alu instid0(VALU_DEP_2)
	v_cmpx_ne_u32_e32 0x7f, v46
	s_cbranch_execz .LBB4_509
; %bb.506:                              ;   in Loop: Header=BB4_323 Depth=3
	v_dual_mov_b32 v5, v65 :: v_dual_bitop2_b32 v4, 7, v44 bitop3:0x40
	v_lshrrev_b32_e32 v45, 3, v46
	s_mov_b32 s21, exec_lo
	v_cmpx_gt_u32_e32 8, v46
; %bb.507:                              ;   in Loop: Header=BB4_323 Depth=3
	s_delay_alu instid0(VALU_DEP_3) | instskip(NEXT) | instid1(VALU_DEP_1)
	v_clz_i32_u32_e32 v45, v4
	v_min_u32_e32 v45, 32, v45
	s_delay_alu instid0(VALU_DEP_1) | instskip(NEXT) | instid1(VALU_DEP_1)
	v_subrev_nc_u32_e32 v46, 28, v45
	v_lshlrev_b64_e32 v[4:5], v46, v[4:5]
	s_delay_alu instid0(VALU_DEP_1)
	v_dual_sub_nc_u32 v45, 29, v45 :: v_dual_bitop2_b32 v4, 7, v4 bitop3:0x40
; %bb.508:                              ;   in Loop: Header=BB4_323 Depth=3
	s_or_b32 exec_lo, exec_lo, s21
	v_lshlrev_b32_e32 v5, 24, v44
	s_delay_alu instid0(VALU_DEP_2) | instskip(NEXT) | instid1(VALU_DEP_3)
	v_lshlrev_b32_e32 v4, 20, v4
	v_lshl_add_u32 v44, v45, 23, 0x3c000000
	s_delay_alu instid0(VALU_DEP_3) | instskip(NEXT) | instid1(VALU_DEP_1)
	v_and_b32_e32 v5, 0x80000000, v5
	v_or3_b32 v5, v4, v5, v44
.LBB4_509:                              ;   in Loop: Header=BB4_323 Depth=3
	s_or_b32 exec_lo, exec_lo, s20
.LBB4_510:                              ;   in Loop: Header=BB4_323 Depth=3
	s_delay_alu instid0(SALU_CYCLE_1)
	s_or_b32 exec_lo, exec_lo, s19
.LBB4_511:                              ;   in Loop: Header=BB4_323 Depth=3
	s_delay_alu instid0(SALU_CYCLE_1) | instskip(NEXT) | instid1(VALU_DEP_1)
	s_or_b32 exec_lo, exec_lo, s8
	v_dual_mul_f32 v4, v30, v5 :: v_dual_mov_b32 v45, v65
                                        ; implicit-def: $vgpr75
	s_mov_b32 s8, exec_lo
	s_delay_alu instid0(VALU_DEP_1) | instskip(SKIP_1) | instid1(VALU_DEP_2)
	v_and_b32_e32 v44, 0x7f800000, v4
	v_lshrrev_b32_e32 v5, 24, v4
	v_cmpx_ne_u64_e32 0x7f800000, v[44:45]
	s_xor_b32 s19, exec_lo, s8
	s_cbranch_execz .LBB4_525
; %bb.512:                              ;   in Loop: Header=BB4_323 Depth=3
	v_and_b32_e32 v44, 0x7fffffff, v4
	v_mov_b32_e32 v45, v65
	v_and_b32_e32 v46, 0x80, v5
                                        ; implicit-def: $vgpr75
	s_mov_b32 s8, exec_lo
	s_delay_alu instid0(VALU_DEP_2)
	v_cmpx_gt_u64_e32 0x43e00001, v[44:45]
	s_xor_b32 s20, exec_lo, s8
	s_cbranch_execz .LBB4_522
; %bb.513:                              ;   in Loop: Header=BB4_323 Depth=3
	v_mov_b32_e32 v75, 0
	s_mov_b32 s21, exec_lo
	v_cmpx_ne_u32_e32 0, v4
	s_cbranch_execz .LBB4_521
; %bb.514:                              ;   in Loop: Header=BB4_323 Depth=3
	v_bfe_u32 v47, v4, 23, 8
	v_and_b32_e32 v44, 0x7fffff, v4
	s_mov_b32 s22, exec_lo
	s_delay_alu instid0(VALU_DEP_2) | instskip(NEXT) | instid1(VALU_DEP_2)
	v_cmp_gt_u32_e32 vcc_lo, 0x7a, v47
	v_or_b32_e32 v45, 0x800000, v44
	v_sub_nc_u32_e32 v5, 0x79, v47
	s_delay_alu instid0(VALU_DEP_1) | instskip(SKIP_1) | instid1(VALU_DEP_2)
	v_cndmask_b32_e32 v5, 0, v5, vcc_lo
	v_cmp_eq_u32_e32 vcc_lo, 0, v47
	v_cndmask_b32_e64 v75, v5, 0x78, vcc_lo
	v_cndmask_b32_e32 v44, v45, v44, vcc_lo
	s_delay_alu instid0(VALU_DEP_2) | instskip(SKIP_1) | instid1(VALU_DEP_2)
	v_dual_mov_b32 v45, v65 :: v_dual_add_nc_u32 v78, 19, v75
	v_add_nc_u32_e32 v4, 20, v75
	v_lshlrev_b64_e64 v[78:79], v78, 1
	s_delay_alu instid0(VALU_DEP_2) | instskip(NEXT) | instid1(VALU_DEP_1)
	v_lshlrev_b64_e64 v[4:5], v4, -1
	v_bfi_b32 v89, v5, 0, 0
	s_delay_alu instid0(VALU_DEP_2) | instskip(SKIP_1) | instid1(VALU_DEP_1)
	v_bfi_b32 v88, v4, 0, v44
	v_lshrrev_b64 v[4:5], v75, v[44:45]
	v_mov_b64_e32 v[44:45], v[4:5]
	s_delay_alu instid0(VALU_DEP_3)
	v_cmpx_eq_u64_e64 v[88:89], v[78:79]
; %bb.515:                              ;   in Loop: Header=BB4_323 Depth=3
	v_bfe_u32 v44, v4, 20, 1
	v_mov_b32_e32 v45, v65
	s_delay_alu instid0(VALU_DEP_1) | instskip(NEXT) | instid1(VALU_DEP_1)
	v_add_nc_u64_e32 v[44:45], v[4:5], v[44:45]
	v_add_nc_u64_e32 v[44:45], -1, v[44:45]
; %bb.516:                              ;   in Loop: Header=BB4_323 Depth=3
	s_or_b32 exec_lo, exec_lo, s22
	v_add_nc_u32_e32 v5, 0xffffff81, v47
	v_lshrrev_b32_e32 v45, 23, v4
	s_mov_b32 s8, exec_lo
	s_delay_alu instid0(VALU_DEP_2) | instskip(NEXT) | instid1(VALU_DEP_1)
	v_cndmask_b32_e64 v5, v5, 0xffffff82, vcc_lo
	v_add3_u32 v45, v75, v5, v45
	v_and_b32_e32 v5, 0xfffff, v44
                                        ; implicit-def: $vgpr44
	s_delay_alu instid0(VALU_DEP_1) | instskip(SKIP_1) | instid1(VALU_DEP_2)
	v_dual_add_nc_u32 v47, 6, v45 :: v_dual_add_nc_u32 v4, v5, v4
	v_mov_b32_e32 v5, v65
	v_cmpx_ne_u32_e32 0, v47
	s_xor_b32 s8, exec_lo, s8
; %bb.517:                              ;   in Loop: Header=BB4_323 Depth=3
	s_delay_alu instid0(VALU_DEP_2) | instskip(SKIP_2) | instid1(VALU_DEP_2)
	v_cmp_lt_u64_e32 vcc_lo, 0xffffff, v[4:5]
	v_add_nc_u32_e32 v44, 7, v45
	v_cndmask_b32_e64 v45, 0, 1, vcc_lo
	v_cndmask_b32_e32 v44, v47, v44, vcc_lo
	s_delay_alu instid0(VALU_DEP_2)
	v_lshrrev_b64 v[4:5], v45, v[4:5]
; %bb.518:                              ;   in Loop: Header=BB4_323 Depth=3
	s_and_not1_saveexec_b32 s8, s8
; %bb.519:                              ;   in Loop: Header=BB4_323 Depth=3
	s_delay_alu instid0(VALU_DEP_1)
	v_bfe_u32 v44, v4, 23, 1
; %bb.520:                              ;   in Loop: Header=BB4_323 Depth=3
	s_or_b32 exec_lo, exec_lo, s8
	s_delay_alu instid0(VALU_DEP_2) | instskip(NEXT) | instid1(VALU_DEP_2)
	v_lshrrev_b64 v[4:5], 20, v[4:5]
	v_cmp_gt_i32_e32 vcc_lo, 16, v44
	v_min_i32_e32 v45, 15, v44
	v_cmp_eq_u32_e64 s8, 0, v44
	s_delay_alu instid0(VALU_DEP_4) | instskip(NEXT) | instid1(VALU_DEP_3)
	v_cndmask_b32_e32 v5, 0, v5, vcc_lo
	v_dual_cndmask_b32 v4, 7, v4 :: v_dual_lshlrev_b32 v45, 3, v45
	s_delay_alu instid0(VALU_DEP_1) | instskip(NEXT) | instid1(VALU_DEP_2)
	v_and_b32_e32 v45, 0xf8, v45
	v_cmp_eq_u64_e32 vcc_lo, 0, v[4:5]
	s_delay_alu instid0(VALU_DEP_2)
	v_and_or_b32 v4, v4, 7, v45
	s_and_b32 s8, s8, vcc_lo
	s_delay_alu instid0(VALU_DEP_1) | instid1(SALU_CYCLE_1)
	v_cndmask_b32_e64 v4, v4, 0, s8
	s_delay_alu instid0(VALU_DEP_1)
	v_or_b32_e32 v75, v4, v46
.LBB4_521:                              ;   in Loop: Header=BB4_323 Depth=3
	s_or_b32 exec_lo, exec_lo, s21
                                        ; implicit-def: $vgpr46
.LBB4_522:                              ;   in Loop: Header=BB4_323 Depth=3
	s_and_not1_saveexec_b32 s8, s20
; %bb.523:                              ;   in Loop: Header=BB4_323 Depth=3
	v_or_b32_e32 v75, 0x7e, v46
; %bb.524:                              ;   in Loop: Header=BB4_323 Depth=3
	s_or_b32 exec_lo, exec_lo, s8
                                        ; implicit-def: $vgpr5
.LBB4_525:                              ;   in Loop: Header=BB4_323 Depth=3
	s_and_not1_saveexec_b32 s8, s19
; %bb.526:                              ;   in Loop: Header=BB4_323 Depth=3
	v_or_b32_e32 v75, 0x7f, v5
; %bb.527:                              ;   in Loop: Header=BB4_323 Depth=3
	s_or_b32 exec_lo, exec_lo, s8
	s_wait_loadcnt 0x0
	v_and_b32_e32 v4, 0xff, v16
	v_dual_mov_b32 v44, 0 :: v_dual_mov_b32 v45, 0
	s_mov_b32 s8, exec_lo
	s_delay_alu instid0(VALU_DEP_2)
	v_cmpx_ne_u16_e32 0, v4
	s_cbranch_execz .LBB4_533
; %bb.528:                              ;   in Loop: Header=BB4_323 Depth=3
	v_bfrev_b32_e32 v45, 1
	s_mov_b32 s19, exec_lo
	v_cmpx_ne_u16_e32 0x80, v4
	s_cbranch_execz .LBB4_532
; %bb.529:                              ;   in Loop: Header=BB4_323 Depth=3
	v_and_b32_e32 v4, 0x7f, v16
	v_mov_b32_e32 v45, 0x7f800001
	s_mov_b32 s20, exec_lo
	s_delay_alu instid0(VALU_DEP_2)
	v_cmpx_ne_u32_e32 0x7f, v4
	s_cbranch_execz .LBB4_531
; %bb.530:                              ;   in Loop: Header=BB4_323 Depth=3
	v_cmp_gt_u32_e32 vcc_lo, 8, v4
	v_and_b32_e32 v5, 7, v16
	s_delay_alu instid0(VALU_DEP_1) | instskip(NEXT) | instid1(VALU_DEP_1)
	v_clz_i32_u32_e32 v5, v5
	v_min_u32_e32 v5, 32, v5
	v_lshrrev_b32_e32 v45, 3, v4
	s_delay_alu instid0(VALU_DEP_2) | instskip(NEXT) | instid1(VALU_DEP_1)
	v_subrev_nc_u32_e32 v46, 28, v5
	v_dual_cndmask_b32 v4, 0, v46 :: v_dual_sub_nc_u32 v5, 29, v5
	s_delay_alu instid0(VALU_DEP_1) | instskip(NEXT) | instid1(VALU_DEP_2)
	v_cndmask_b32_e32 v45, v45, v5, vcc_lo
	v_lshlrev_b64_e32 v[4:5], v4, v[16:17]
	v_lshlrev_b32_e32 v5, 24, v16
	s_delay_alu instid0(VALU_DEP_3) | instskip(NEXT) | instid1(VALU_DEP_2)
	v_lshl_add_u32 v17, v45, 23, 0x3c000000
	v_and_b32_e32 v5, 0x80000000, v5
	s_delay_alu instid0(VALU_DEP_4) | instskip(NEXT) | instid1(VALU_DEP_1)
	v_lshlrev_b32_e32 v4, 20, v4
	v_and_b32_e32 v4, 0x700000, v4
	s_delay_alu instid0(VALU_DEP_1)
	v_or3_b32 v45, v4, v5, v17
.LBB4_531:                              ;   in Loop: Header=BB4_323 Depth=3
	s_or_b32 exec_lo, exec_lo, s20
.LBB4_532:                              ;   in Loop: Header=BB4_323 Depth=3
	s_delay_alu instid0(SALU_CYCLE_1)
	s_or_b32 exec_lo, exec_lo, s19
.LBB4_533:                              ;   in Loop: Header=BB4_323 Depth=3
	s_delay_alu instid0(SALU_CYCLE_1) | instskip(SKIP_4) | instid1(VALU_DEP_2)
	s_or_b32 exec_lo, exec_lo, s8
	v_lshl_or_b32 v17, v72, 8, v2
	v_dual_lshlrev_b32 v4, 16, v76 :: v_dual_lshlrev_b32 v46, 24, v77
	v_mov_b32_e32 v5, v65
	s_mov_b32 s8, exec_lo
	v_or3_b32 v4, v4, v46, v17
	v_cmpx_ne_u32_e32 0, v2
	s_cbranch_execz .LBB4_539
; %bb.534:                              ;   in Loop: Header=BB4_323 Depth=3
	v_bfrev_b32_e32 v44, 1
	s_mov_b32 s19, exec_lo
	v_cmpx_ne_u32_e32 0x80, v2
	s_cbranch_execz .LBB4_538
; %bb.535:                              ;   in Loop: Header=BB4_323 Depth=3
	v_and_b32_e32 v46, 0x7f, v2
	v_mov_b32_e32 v44, 0x7f800001
	s_mov_b32 s20, exec_lo
	s_delay_alu instid0(VALU_DEP_2)
	v_cmpx_ne_u32_e32 0x7f, v46
	s_cbranch_execz .LBB4_537
; %bb.536:                              ;   in Loop: Header=BB4_323 Depth=3
	v_cmp_gt_u32_e32 vcc_lo, 8, v46
	v_and_b32_e32 v2, 7, v2
	v_lshrrev_b32_e32 v44, 3, v46
	s_delay_alu instid0(VALU_DEP_2) | instskip(NEXT) | instid1(VALU_DEP_1)
	v_clz_i32_u32_e32 v2, v2
	v_min_u32_e32 v2, 32, v2
	s_delay_alu instid0(VALU_DEP_1) | instskip(SKIP_1) | instid1(VALU_DEP_1)
	v_subrev_nc_u32_e32 v47, 28, v2
	v_sub_nc_u32_e32 v2, 29, v2
	v_dual_cndmask_b32 v2, v44, v2, vcc_lo :: v_dual_cndmask_b32 v44, 0, v47, vcc_lo
	s_delay_alu instid0(VALU_DEP_1) | instskip(NEXT) | instid1(VALU_DEP_2)
	v_lshl_add_u32 v2, v2, 23, 0x3c000000
	v_lshlrev_b64_e32 v[46:47], v44, v[4:5]
	v_lshlrev_b32_e32 v5, 24, v4
	s_delay_alu instid0(VALU_DEP_1) | instskip(NEXT) | instid1(VALU_DEP_3)
	v_and_b32_e32 v5, 0x80000000, v5
	v_lshlrev_b32_e32 v44, 20, v46
	s_delay_alu instid0(VALU_DEP_1) | instskip(NEXT) | instid1(VALU_DEP_1)
	v_and_b32_e32 v44, 0x700000, v44
	v_or3_b32 v44, v44, v5, v2
.LBB4_537:                              ;   in Loop: Header=BB4_323 Depth=3
	s_or_b32 exec_lo, exec_lo, s20
.LBB4_538:                              ;   in Loop: Header=BB4_323 Depth=3
	s_delay_alu instid0(SALU_CYCLE_1)
	s_or_b32 exec_lo, exec_lo, s19
.LBB4_539:                              ;   in Loop: Header=BB4_323 Depth=3
	s_delay_alu instid0(SALU_CYCLE_1) | instskip(NEXT) | instid1(VALU_DEP_1)
	s_or_b32 exec_lo, exec_lo, s8
	v_add_f32_e32 v44, v45, v44
	v_mov_b32_e32 v47, v65
                                        ; implicit-def: $vgpr2
	s_mov_b32 s8, exec_lo
	s_delay_alu instid0(VALU_DEP_2) | instskip(SKIP_1) | instid1(VALU_DEP_2)
	v_and_b32_e32 v46, 0x7f800000, v44
	v_lshrrev_b32_e32 v5, 24, v44
	v_cmpx_ne_u64_e32 0x7f800000, v[46:47]
	s_xor_b32 s19, exec_lo, s8
	s_cbranch_execz .LBB4_553
; %bb.540:                              ;   in Loop: Header=BB4_323 Depth=3
	v_and_b32_e32 v46, 0x7fffffff, v44
	v_mov_b32_e32 v47, v65
	v_and_b32_e32 v5, 0x80, v5
                                        ; implicit-def: $vgpr2
	s_mov_b32 s8, exec_lo
	s_delay_alu instid0(VALU_DEP_2)
	v_cmpx_gt_u64_e32 0x43e00001, v[46:47]
	s_xor_b32 s20, exec_lo, s8
	s_cbranch_execz .LBB4_550
; %bb.541:                              ;   in Loop: Header=BB4_323 Depth=3
	v_mov_b32_e32 v2, 0
	s_mov_b32 s21, exec_lo
	v_cmpx_ne_u32_e32 0, v44
	s_cbranch_execz .LBB4_549
; %bb.542:                              ;   in Loop: Header=BB4_323 Depth=3
	v_bfe_u32 v2, v44, 23, 8
	v_and_b32_e32 v46, 0x7fffff, v44
	s_mov_b32 s22, exec_lo
	s_delay_alu instid0(VALU_DEP_2) | instskip(SKIP_1) | instid1(VALU_DEP_3)
	v_sub_nc_u32_e32 v45, 0x79, v2
	v_cmp_gt_u32_e32 vcc_lo, 0x7a, v2
	v_or_b32_e32 v47, 0x800000, v46
	s_delay_alu instid0(VALU_DEP_3) | instskip(SKIP_1) | instid1(VALU_DEP_2)
	v_cndmask_b32_e32 v45, 0, v45, vcc_lo
	v_cmp_eq_u32_e32 vcc_lo, 0, v2
	v_cndmask_b32_e64 v72, v45, 0x78, vcc_lo
	s_delay_alu instid0(VALU_DEP_4) | instskip(NEXT) | instid1(VALU_DEP_2)
	v_dual_cndmask_b32 v46, v47, v46 :: v_dual_mov_b32 v47, v65
	v_dual_add_nc_u32 v44, 20, v72 :: v_dual_add_nc_u32 v76, 19, v72
	s_delay_alu instid0(VALU_DEP_1) | instskip(NEXT) | instid1(VALU_DEP_2)
	v_lshlrev_b64_e64 v[44:45], v44, -1
	v_lshlrev_b64_e64 v[76:77], v76, 1
	s_delay_alu instid0(VALU_DEP_2) | instskip(NEXT) | instid1(VALU_DEP_3)
	v_bfi_b32 v79, v45, 0, 0
	v_bfi_b32 v78, v44, 0, v46
	v_lshrrev_b64 v[44:45], v72, v[46:47]
	s_delay_alu instid0(VALU_DEP_1) | instskip(NEXT) | instid1(VALU_DEP_3)
	v_mov_b64_e32 v[46:47], v[44:45]
	v_cmpx_eq_u64_e64 v[78:79], v[76:77]
; %bb.543:                              ;   in Loop: Header=BB4_323 Depth=3
	v_bfe_u32 v46, v44, 20, 1
	v_mov_b32_e32 v47, v65
	s_delay_alu instid0(VALU_DEP_1) | instskip(NEXT) | instid1(VALU_DEP_1)
	v_add_nc_u64_e32 v[46:47], v[44:45], v[46:47]
	v_add_nc_u64_e32 v[46:47], -1, v[46:47]
; %bb.544:                              ;   in Loop: Header=BB4_323 Depth=3
	s_or_b32 exec_lo, exec_lo, s22
	v_add_nc_u32_e32 v2, 0xffffff81, v2
	v_lshrrev_b32_e32 v45, 23, v44
	s_mov_b32 s8, exec_lo
	s_delay_alu instid0(VALU_DEP_2) | instskip(NEXT) | instid1(VALU_DEP_1)
	v_cndmask_b32_e64 v2, v2, 0xffffff82, vcc_lo
	v_add3_u32 v47, v72, v2, v45
	v_and_b32_e32 v2, 0xfffff, v46
	s_delay_alu instid0(VALU_DEP_2) | instskip(NEXT) | instid1(VALU_DEP_2)
	v_dual_mov_b32 v45, v65 :: v_dual_add_nc_u32 v46, 6, v47
	v_add_nc_u32_e32 v44, v2, v44
                                        ; implicit-def: $vgpr2
	s_delay_alu instid0(VALU_DEP_2)
	v_cmpx_ne_u32_e32 0, v46
	s_xor_b32 s8, exec_lo, s8
; %bb.545:                              ;   in Loop: Header=BB4_323 Depth=3
	s_delay_alu instid0(VALU_DEP_2) | instskip(SKIP_1) | instid1(VALU_DEP_1)
	v_cmp_lt_u64_e32 vcc_lo, 0xffffff, v[44:45]
	v_add_nc_u32_e32 v2, 7, v47
	v_cndmask_b32_e32 v2, v46, v2, vcc_lo
	v_cndmask_b32_e64 v46, 0, 1, vcc_lo
	s_delay_alu instid0(VALU_DEP_1)
	v_lshrrev_b64 v[44:45], v46, v[44:45]
; %bb.546:                              ;   in Loop: Header=BB4_323 Depth=3
	s_and_not1_saveexec_b32 s8, s8
; %bb.547:                              ;   in Loop: Header=BB4_323 Depth=3
	s_delay_alu instid0(VALU_DEP_1)
	v_bfe_u32 v2, v44, 23, 1
; %bb.548:                              ;   in Loop: Header=BB4_323 Depth=3
	s_or_b32 exec_lo, exec_lo, s8
	s_delay_alu instid0(VALU_DEP_2) | instskip(NEXT) | instid1(VALU_DEP_2)
	v_lshrrev_b64 v[44:45], 20, v[44:45]
	v_cmp_gt_i32_e32 vcc_lo, 16, v2
	v_min_i32_e32 v46, 15, v2
	v_cmp_eq_u32_e64 s8, 0, v2
	s_delay_alu instid0(VALU_DEP_2) | instskip(SKIP_1) | instid1(VALU_DEP_2)
	v_dual_cndmask_b32 v45, 0, v45 :: v_dual_lshlrev_b32 v46, 3, v46
	v_cndmask_b32_e32 v44, 7, v44, vcc_lo
	v_and_b32_e32 v46, 0xf8, v46
	s_delay_alu instid0(VALU_DEP_2) | instskip(NEXT) | instid1(VALU_DEP_2)
	v_cmp_eq_u64_e32 vcc_lo, 0, v[44:45]
	v_and_or_b32 v2, v44, 7, v46
	s_and_b32 s8, s8, vcc_lo
	s_delay_alu instid0(VALU_DEP_1) | instid1(SALU_CYCLE_1)
	v_cndmask_b32_e64 v2, v2, 0, s8
	s_delay_alu instid0(VALU_DEP_1)
	v_or_b32_e32 v2, v2, v5
.LBB4_549:                              ;   in Loop: Header=BB4_323 Depth=3
	s_or_b32 exec_lo, exec_lo, s21
                                        ; implicit-def: $vgpr5
.LBB4_550:                              ;   in Loop: Header=BB4_323 Depth=3
	s_and_not1_saveexec_b32 s8, s20
; %bb.551:                              ;   in Loop: Header=BB4_323 Depth=3
	v_or_b32_e32 v2, 0x7e, v5
; %bb.552:                              ;   in Loop: Header=BB4_323 Depth=3
	s_or_b32 exec_lo, exec_lo, s8
                                        ; implicit-def: $vgpr5
.LBB4_553:                              ;   in Loop: Header=BB4_323 Depth=3
	s_and_not1_saveexec_b32 s8, s19
; %bb.554:                              ;   in Loop: Header=BB4_323 Depth=3
	v_or_b32_e32 v2, 0x7f, v5
; %bb.555:                              ;   in Loop: Header=BB4_323 Depth=3
	s_or_b32 exec_lo, exec_lo, s8
	v_lshrrev_b16 v44, 8, v16
	v_dual_mov_b32 v5, 0 :: v_dual_mov_b32 v46, 0
	s_mov_b32 s8, exec_lo
	s_delay_alu instid0(VALU_DEP_2)
	v_cmpx_ne_u16_e32 0, v44
	s_cbranch_execz .LBB4_563
; %bb.556:                              ;   in Loop: Header=BB4_323 Depth=3
	v_bfrev_b32_e32 v46, 1
	s_mov_b32 s19, exec_lo
	v_cmpx_ne_u16_e32 0x80, v44
	s_cbranch_execz .LBB4_562
; %bb.557:                              ;   in Loop: Header=BB4_323 Depth=3
	v_and_b32_e32 v44, 0xffff, v44
	v_mov_b32_e32 v46, 0x7f800001
	s_mov_b32 s20, exec_lo
	s_delay_alu instid0(VALU_DEP_2) | instskip(NEXT) | instid1(VALU_DEP_1)
	v_and_b32_e32 v47, 0x7f, v44
	v_cmpx_ne_u32_e32 0x7f, v47
	s_cbranch_execz .LBB4_561
; %bb.558:                              ;   in Loop: Header=BB4_323 Depth=3
	v_dual_mov_b32 v45, v65 :: v_dual_bitop2_b32 v44, 7, v44 bitop3:0x40
	v_lshrrev_b32_e32 v46, 3, v47
	s_mov_b32 s21, exec_lo
	v_cmpx_gt_u32_e32 8, v47
; %bb.559:                              ;   in Loop: Header=BB4_323 Depth=3
	s_delay_alu instid0(VALU_DEP_3) | instskip(NEXT) | instid1(VALU_DEP_1)
	v_clz_i32_u32_e32 v46, v44
	v_min_u32_e32 v46, 32, v46
	s_delay_alu instid0(VALU_DEP_1) | instskip(NEXT) | instid1(VALU_DEP_1)
	v_subrev_nc_u32_e32 v47, 28, v46
	v_lshlrev_b64_e32 v[44:45], v47, v[44:45]
	s_delay_alu instid0(VALU_DEP_1)
	v_dual_sub_nc_u32 v46, 29, v46 :: v_dual_bitop2_b32 v44, 7, v44 bitop3:0x40
; %bb.560:                              ;   in Loop: Header=BB4_323 Depth=3
	s_or_b32 exec_lo, exec_lo, s21
	v_lshlrev_b32_e32 v45, 16, v16
	s_delay_alu instid0(VALU_DEP_2) | instskip(NEXT) | instid1(VALU_DEP_3)
	v_lshlrev_b32_e32 v44, 20, v44
	v_lshl_add_u32 v46, v46, 23, 0x3c000000
	s_delay_alu instid0(VALU_DEP_3) | instskip(NEXT) | instid1(VALU_DEP_1)
	v_and_b32_e32 v45, 0x80000000, v45
	v_or3_b32 v46, v44, v45, v46
.LBB4_561:                              ;   in Loop: Header=BB4_323 Depth=3
	s_or_b32 exec_lo, exec_lo, s20
.LBB4_562:                              ;   in Loop: Header=BB4_323 Depth=3
	s_delay_alu instid0(SALU_CYCLE_1)
	s_or_b32 exec_lo, exec_lo, s19
.LBB4_563:                              ;   in Loop: Header=BB4_323 Depth=3
	s_delay_alu instid0(SALU_CYCLE_1) | instskip(SKIP_2) | instid1(VALU_DEP_1)
	s_or_b32 exec_lo, exec_lo, s8
	v_lshrrev_b16 v44, 8, v17
	s_mov_b32 s8, exec_lo
	v_cmpx_ne_u16_e32 0, v44
	s_cbranch_execz .LBB4_571
; %bb.564:                              ;   in Loop: Header=BB4_323 Depth=3
	v_bfrev_b32_e32 v5, 1
	s_mov_b32 s19, exec_lo
	v_cmpx_ne_u16_e32 0x80, v44
	s_cbranch_execz .LBB4_570
; %bb.565:                              ;   in Loop: Header=BB4_323 Depth=3
	v_and_b32_e32 v44, 0xffff, v44
	v_mov_b32_e32 v5, 0x7f800001
	s_mov_b32 s20, exec_lo
	s_delay_alu instid0(VALU_DEP_2) | instskip(NEXT) | instid1(VALU_DEP_1)
	v_and_b32_e32 v47, 0x7f, v44
	v_cmpx_ne_u32_e32 0x7f, v47
	s_cbranch_execz .LBB4_569
; %bb.566:                              ;   in Loop: Header=BB4_323 Depth=3
	v_dual_mov_b32 v45, v65 :: v_dual_bitop2_b32 v44, 7, v44 bitop3:0x40
	v_lshrrev_b32_e32 v5, 3, v47
	s_mov_b32 s21, exec_lo
	v_cmpx_gt_u32_e32 8, v47
; %bb.567:                              ;   in Loop: Header=BB4_323 Depth=3
	s_delay_alu instid0(VALU_DEP_3) | instskip(NEXT) | instid1(VALU_DEP_1)
	v_clz_i32_u32_e32 v5, v44
	v_min_u32_e32 v5, 32, v5
	s_delay_alu instid0(VALU_DEP_1) | instskip(NEXT) | instid1(VALU_DEP_1)
	v_subrev_nc_u32_e32 v47, 28, v5
	v_lshlrev_b64_e32 v[44:45], v47, v[44:45]
	s_delay_alu instid0(VALU_DEP_1)
	v_dual_sub_nc_u32 v5, 29, v5 :: v_dual_bitop2_b32 v44, 7, v44 bitop3:0x40
; %bb.568:                              ;   in Loop: Header=BB4_323 Depth=3
	s_or_b32 exec_lo, exec_lo, s21
	s_delay_alu instid0(VALU_DEP_1) | instskip(NEXT) | instid1(VALU_DEP_2)
	v_dual_lshlrev_b32 v17, 16, v17 :: v_dual_lshlrev_b32 v44, 20, v44
	v_lshl_add_u32 v5, v5, 23, 0x3c000000
	s_delay_alu instid0(VALU_DEP_2) | instskip(NEXT) | instid1(VALU_DEP_1)
	v_and_b32_e32 v17, 0x80000000, v17
	v_or3_b32 v5, v44, v17, v5
.LBB4_569:                              ;   in Loop: Header=BB4_323 Depth=3
	s_or_b32 exec_lo, exec_lo, s20
.LBB4_570:                              ;   in Loop: Header=BB4_323 Depth=3
	s_delay_alu instid0(SALU_CYCLE_1)
	s_or_b32 exec_lo, exec_lo, s19
.LBB4_571:                              ;   in Loop: Header=BB4_323 Depth=3
	s_delay_alu instid0(SALU_CYCLE_1) | instskip(NEXT) | instid1(VALU_DEP_1)
	s_or_b32 exec_lo, exec_lo, s8
	v_dual_add_f32 v17, v46, v5 :: v_dual_mov_b32 v45, v65
                                        ; implicit-def: $vgpr72
	s_mov_b32 s8, exec_lo
	s_delay_alu instid0(VALU_DEP_1) | instskip(SKIP_1) | instid1(VALU_DEP_2)
	v_and_b32_e32 v44, 0x7f800000, v17
	v_lshrrev_b32_e32 v5, 24, v17
	v_cmpx_ne_u64_e32 0x7f800000, v[44:45]
	s_xor_b32 s19, exec_lo, s8
	s_cbranch_execz .LBB4_585
; %bb.572:                              ;   in Loop: Header=BB4_323 Depth=3
	v_and_b32_e32 v44, 0x7fffffff, v17
	v_mov_b32_e32 v45, v65
	v_and_b32_e32 v5, 0x80, v5
                                        ; implicit-def: $vgpr72
	s_mov_b32 s8, exec_lo
	s_delay_alu instid0(VALU_DEP_2)
	v_cmpx_gt_u64_e32 0x43e00001, v[44:45]
	s_xor_b32 s20, exec_lo, s8
	s_cbranch_execz .LBB4_582
; %bb.573:                              ;   in Loop: Header=BB4_323 Depth=3
	v_mov_b32_e32 v72, 0
	s_mov_b32 s21, exec_lo
	v_cmpx_ne_u32_e32 0, v17
	s_cbranch_execz .LBB4_581
; %bb.574:                              ;   in Loop: Header=BB4_323 Depth=3
	v_bfe_u32 v72, v17, 23, 8
	v_and_b32_e32 v17, 0x7fffff, v17
	s_mov_b32 s22, exec_lo
	s_delay_alu instid0(VALU_DEP_2) | instskip(SKIP_1) | instid1(VALU_DEP_3)
	v_dual_mov_b32 v47, v65 :: v_dual_sub_nc_u32 v44, 0x79, v72
	v_cmp_gt_u32_e32 vcc_lo, 0x7a, v72
	v_or_b32_e32 v46, 0x800000, v17
	s_delay_alu instid0(VALU_DEP_3) | instskip(SKIP_1) | instid1(VALU_DEP_3)
	v_cndmask_b32_e32 v44, 0, v44, vcc_lo
	v_cmp_eq_u32_e32 vcc_lo, 0, v72
	v_cndmask_b32_e32 v46, v46, v17, vcc_lo
	s_delay_alu instid0(VALU_DEP_3) | instskip(NEXT) | instid1(VALU_DEP_1)
	v_cndmask_b32_e64 v76, v44, 0x78, vcc_lo
	v_dual_add_nc_u32 v44, 20, v76 :: v_dual_add_nc_u32 v77, 19, v76
	s_delay_alu instid0(VALU_DEP_1) | instskip(NEXT) | instid1(VALU_DEP_2)
	v_lshlrev_b64_e64 v[44:45], v44, -1
	v_lshlrev_b64_e64 v[78:79], v77, 1
	s_delay_alu instid0(VALU_DEP_2) | instskip(NEXT) | instid1(VALU_DEP_3)
	v_bfi_b32 v89, v45, 0, 0
	v_bfi_b32 v88, v44, 0, v46
	v_lshrrev_b64 v[44:45], v76, v[46:47]
	s_delay_alu instid0(VALU_DEP_1) | instskip(NEXT) | instid1(VALU_DEP_3)
	v_mov_b64_e32 v[46:47], v[44:45]
	v_cmpx_eq_u64_e64 v[88:89], v[78:79]
; %bb.575:                              ;   in Loop: Header=BB4_323 Depth=3
	v_bfe_u32 v46, v44, 20, 1
	v_mov_b32_e32 v47, v65
	s_delay_alu instid0(VALU_DEP_1) | instskip(NEXT) | instid1(VALU_DEP_1)
	v_add_nc_u64_e32 v[46:47], v[44:45], v[46:47]
	v_add_nc_u64_e32 v[46:47], -1, v[46:47]
; %bb.576:                              ;   in Loop: Header=BB4_323 Depth=3
	s_or_b32 exec_lo, exec_lo, s22
	v_add_nc_u32_e32 v17, 0xffffff81, v72
	v_lshrrev_b32_e32 v45, 23, v44
	s_mov_b32 s8, exec_lo
	s_delay_alu instid0(VALU_DEP_2) | instskip(NEXT) | instid1(VALU_DEP_1)
	v_cndmask_b32_e64 v17, v17, 0xffffff82, vcc_lo
	v_add3_u32 v47, v76, v17, v45
	v_and_b32_e32 v17, 0xfffff, v46
	s_delay_alu instid0(VALU_DEP_2) | instskip(NEXT) | instid1(VALU_DEP_2)
	v_dual_mov_b32 v45, v65 :: v_dual_add_nc_u32 v46, 6, v47
	v_add_nc_u32_e32 v44, v17, v44
                                        ; implicit-def: $vgpr17
	s_delay_alu instid0(VALU_DEP_2)
	v_cmpx_ne_u32_e32 0, v46
	s_xor_b32 s8, exec_lo, s8
; %bb.577:                              ;   in Loop: Header=BB4_323 Depth=3
	s_delay_alu instid0(VALU_DEP_2) | instskip(SKIP_1) | instid1(VALU_DEP_1)
	v_cmp_lt_u64_e32 vcc_lo, 0xffffff, v[44:45]
	v_add_nc_u32_e32 v17, 7, v47
	v_cndmask_b32_e32 v17, v46, v17, vcc_lo
	v_cndmask_b32_e64 v46, 0, 1, vcc_lo
	s_delay_alu instid0(VALU_DEP_1)
	v_lshrrev_b64 v[44:45], v46, v[44:45]
; %bb.578:                              ;   in Loop: Header=BB4_323 Depth=3
	s_and_not1_saveexec_b32 s8, s8
; %bb.579:                              ;   in Loop: Header=BB4_323 Depth=3
	s_delay_alu instid0(VALU_DEP_1)
	v_bfe_u32 v17, v44, 23, 1
; %bb.580:                              ;   in Loop: Header=BB4_323 Depth=3
	s_or_b32 exec_lo, exec_lo, s8
	s_delay_alu instid0(VALU_DEP_2) | instskip(NEXT) | instid1(VALU_DEP_2)
	v_lshrrev_b64 v[44:45], 20, v[44:45]
	v_cmp_gt_i32_e32 vcc_lo, 16, v17
	v_min_i32_e32 v46, 15, v17
	v_cmp_eq_u32_e64 s8, 0, v17
	s_delay_alu instid0(VALU_DEP_2) | instskip(SKIP_1) | instid1(VALU_DEP_2)
	v_dual_cndmask_b32 v44, 7, v44, vcc_lo :: v_dual_lshlrev_b32 v46, 3, v46
	v_cndmask_b32_e32 v45, 0, v45, vcc_lo
	v_and_b32_e32 v46, 0xf8, v46
	s_delay_alu instid0(VALU_DEP_2) | instskip(NEXT) | instid1(VALU_DEP_2)
	v_cmp_eq_u64_e32 vcc_lo, 0, v[44:45]
	v_and_or_b32 v17, v44, 7, v46
	s_and_b32 s8, s8, vcc_lo
	s_delay_alu instid0(VALU_DEP_1) | instid1(SALU_CYCLE_1)
	v_cndmask_b32_e64 v17, v17, 0, s8
	s_delay_alu instid0(VALU_DEP_1)
	v_or_b32_e32 v72, v17, v5
.LBB4_581:                              ;   in Loop: Header=BB4_323 Depth=3
	s_or_b32 exec_lo, exec_lo, s21
                                        ; implicit-def: $vgpr5
.LBB4_582:                              ;   in Loop: Header=BB4_323 Depth=3
	s_and_not1_saveexec_b32 s8, s20
; %bb.583:                              ;   in Loop: Header=BB4_323 Depth=3
	v_or_b32_e32 v72, 0x7e, v5
; %bb.584:                              ;   in Loop: Header=BB4_323 Depth=3
	s_or_b32 exec_lo, exec_lo, s8
                                        ; implicit-def: $vgpr5
.LBB4_585:                              ;   in Loop: Header=BB4_323 Depth=3
	s_and_not1_saveexec_b32 s8, s19
; %bb.586:                              ;   in Loop: Header=BB4_323 Depth=3
	v_or_b32_e32 v72, 0x7f, v5
; %bb.587:                              ;   in Loop: Header=BB4_323 Depth=3
	s_or_b32 exec_lo, exec_lo, s8
	v_dual_mov_b32 v5, 0 :: v_dual_lshrrev_b32 v46, 16, v16
	v_mov_b32_e32 v17, 0
	s_mov_b32 s8, exec_lo
	s_delay_alu instid0(VALU_DEP_2) | instskip(NEXT) | instid1(VALU_DEP_1)
	v_and_b32_e32 v44, 0xff, v46
	v_cmpx_ne_u16_e32 0, v44
	s_cbranch_execz .LBB4_595
; %bb.588:                              ;   in Loop: Header=BB4_323 Depth=3
	v_bfrev_b32_e32 v17, 1
	s_mov_b32 s19, exec_lo
	v_cmpx_ne_u16_e32 0x80, v44
	s_cbranch_execz .LBB4_594
; %bb.589:                              ;   in Loop: Header=BB4_323 Depth=3
	v_bfe_u32 v47, v16, 16, 7
	v_mov_b32_e32 v17, 0x7f800001
	s_mov_b32 s20, exec_lo
	s_delay_alu instid0(VALU_DEP_2)
	v_cmpx_ne_u32_e32 0x7f, v47
	s_cbranch_execz .LBB4_593
; %bb.590:                              ;   in Loop: Header=BB4_323 Depth=3
	v_dual_mov_b32 v45, v65 :: v_dual_bitop2_b32 v44, 7, v46 bitop3:0x40
	v_lshrrev_b32_e32 v17, 3, v47
	s_mov_b32 s21, exec_lo
	v_cmpx_gt_u32_e32 8, v47
; %bb.591:                              ;   in Loop: Header=BB4_323 Depth=3
	s_delay_alu instid0(VALU_DEP_3) | instskip(NEXT) | instid1(VALU_DEP_1)
	v_clz_i32_u32_e32 v17, v44
	v_min_u32_e32 v17, 32, v17
	s_delay_alu instid0(VALU_DEP_1) | instskip(NEXT) | instid1(VALU_DEP_1)
	v_subrev_nc_u32_e32 v47, 28, v17
	v_lshlrev_b64_e32 v[44:45], v47, v[44:45]
	s_delay_alu instid0(VALU_DEP_1)
	v_dual_sub_nc_u32 v17, 29, v17 :: v_dual_bitop2_b32 v44, 7, v44 bitop3:0x40
; %bb.592:                              ;   in Loop: Header=BB4_323 Depth=3
	s_or_b32 exec_lo, exec_lo, s21
	s_delay_alu instid0(VALU_DEP_1) | instskip(NEXT) | instid1(VALU_DEP_2)
	v_dual_lshlrev_b32 v45, 24, v46 :: v_dual_lshlrev_b32 v44, 20, v44
	v_lshl_add_u32 v17, v17, 23, 0x3c000000
	s_delay_alu instid0(VALU_DEP_2) | instskip(NEXT) | instid1(VALU_DEP_1)
	v_and_b32_e32 v45, 0x80000000, v45
	v_or3_b32 v17, v44, v45, v17
.LBB4_593:                              ;   in Loop: Header=BB4_323 Depth=3
	s_or_b32 exec_lo, exec_lo, s20
.LBB4_594:                              ;   in Loop: Header=BB4_323 Depth=3
	s_delay_alu instid0(SALU_CYCLE_1)
	s_or_b32 exec_lo, exec_lo, s19
.LBB4_595:                              ;   in Loop: Header=BB4_323 Depth=3
	s_delay_alu instid0(SALU_CYCLE_1) | instskip(SKIP_2) | instid1(VALU_DEP_1)
	s_or_b32 exec_lo, exec_lo, s8
	v_lshrrev_b32_e32 v44, 16, v4
	s_mov_b32 s8, exec_lo
	v_and_b32_e32 v45, 0xff, v44
	s_delay_alu instid0(VALU_DEP_1)
	v_cmpx_ne_u16_e32 0, v45
	s_cbranch_execz .LBB4_603
; %bb.596:                              ;   in Loop: Header=BB4_323 Depth=3
	v_bfrev_b32_e32 v5, 1
	s_mov_b32 s19, exec_lo
	v_cmpx_ne_u16_e32 0x80, v45
	s_cbranch_execz .LBB4_602
; %bb.597:                              ;   in Loop: Header=BB4_323 Depth=3
	v_bfe_u32 v46, v4, 16, 7
	v_mov_b32_e32 v5, 0x7f800001
	s_mov_b32 s20, exec_lo
	s_delay_alu instid0(VALU_DEP_2)
	v_cmpx_ne_u32_e32 0x7f, v46
	s_cbranch_execz .LBB4_601
; %bb.598:                              ;   in Loop: Header=BB4_323 Depth=3
	v_dual_mov_b32 v45, v65 :: v_dual_bitop2_b32 v44, 7, v44 bitop3:0x40
	v_lshrrev_b32_e32 v5, 3, v46
	s_mov_b32 s21, exec_lo
	v_cmpx_gt_u32_e32 8, v46
; %bb.599:                              ;   in Loop: Header=BB4_323 Depth=3
	s_delay_alu instid0(VALU_DEP_3) | instskip(NEXT) | instid1(VALU_DEP_1)
	v_clz_i32_u32_e32 v5, v44
	v_min_u32_e32 v5, 32, v5
	s_delay_alu instid0(VALU_DEP_1) | instskip(NEXT) | instid1(VALU_DEP_1)
	v_subrev_nc_u32_e32 v46, 28, v5
	v_lshlrev_b64_e32 v[44:45], v46, v[44:45]
	s_delay_alu instid0(VALU_DEP_1)
	v_dual_sub_nc_u32 v5, 29, v5 :: v_dual_bitop2_b32 v44, 7, v44 bitop3:0x40
; %bb.600:                              ;   in Loop: Header=BB4_323 Depth=3
	s_or_b32 exec_lo, exec_lo, s21
	v_lshlrev_b32_e32 v45, 8, v4
	s_delay_alu instid0(VALU_DEP_2) | instskip(NEXT) | instid1(VALU_DEP_3)
	v_lshlrev_b32_e32 v44, 20, v44
	v_lshl_add_u32 v5, v5, 23, 0x3c000000
	s_delay_alu instid0(VALU_DEP_3) | instskip(NEXT) | instid1(VALU_DEP_1)
	v_and_b32_e32 v45, 0x80000000, v45
	v_or3_b32 v5, v44, v45, v5
.LBB4_601:                              ;   in Loop: Header=BB4_323 Depth=3
	s_or_b32 exec_lo, exec_lo, s20
.LBB4_602:                              ;   in Loop: Header=BB4_323 Depth=3
	s_delay_alu instid0(SALU_CYCLE_1)
	s_or_b32 exec_lo, exec_lo, s19
.LBB4_603:                              ;   in Loop: Header=BB4_323 Depth=3
	s_delay_alu instid0(SALU_CYCLE_1) | instskip(NEXT) | instid1(VALU_DEP_1)
	s_or_b32 exec_lo, exec_lo, s8
	v_add_f32_e32 v17, v17, v5
	v_mov_b32_e32 v45, v65
                                        ; implicit-def: $vgpr46
	s_mov_b32 s8, exec_lo
	s_delay_alu instid0(VALU_DEP_2) | instskip(SKIP_1) | instid1(VALU_DEP_2)
	v_and_b32_e32 v44, 0x7f800000, v17
	v_lshrrev_b32_e32 v5, 24, v17
	v_cmpx_ne_u64_e32 0x7f800000, v[44:45]
	s_xor_b32 s19, exec_lo, s8
	s_cbranch_execz .LBB4_617
; %bb.604:                              ;   in Loop: Header=BB4_323 Depth=3
	v_and_b32_e32 v44, 0x7fffffff, v17
	v_mov_b32_e32 v45, v65
	v_and_b32_e32 v5, 0x80, v5
                                        ; implicit-def: $vgpr46
	s_mov_b32 s8, exec_lo
	s_delay_alu instid0(VALU_DEP_2)
	v_cmpx_gt_u64_e32 0x43e00001, v[44:45]
	s_xor_b32 s20, exec_lo, s8
	s_cbranch_execz .LBB4_614
; %bb.605:                              ;   in Loop: Header=BB4_323 Depth=3
	v_mov_b32_e32 v46, 0
	s_mov_b32 s21, exec_lo
	v_cmpx_ne_u32_e32 0, v17
	s_cbranch_execz .LBB4_613
; %bb.606:                              ;   in Loop: Header=BB4_323 Depth=3
	v_bfe_u32 v76, v17, 23, 8
	v_and_b32_e32 v17, 0x7fffff, v17
	s_mov_b32 s22, exec_lo
	s_delay_alu instid0(VALU_DEP_2) | instskip(SKIP_1) | instid1(VALU_DEP_3)
	v_dual_mov_b32 v47, v65 :: v_dual_sub_nc_u32 v44, 0x79, v76
	v_cmp_gt_u32_e32 vcc_lo, 0x7a, v76
	v_or_b32_e32 v46, 0x800000, v17
	s_delay_alu instid0(VALU_DEP_3) | instskip(SKIP_1) | instid1(VALU_DEP_2)
	v_cndmask_b32_e32 v44, 0, v44, vcc_lo
	v_cmp_eq_u32_e32 vcc_lo, 0, v76
	v_cndmask_b32_e64 v77, v44, 0x78, vcc_lo
	s_delay_alu instid0(VALU_DEP_4) | instskip(NEXT) | instid1(VALU_DEP_2)
	v_cndmask_b32_e32 v46, v46, v17, vcc_lo
	v_dual_add_nc_u32 v44, 20, v77 :: v_dual_add_nc_u32 v78, 19, v77
	s_delay_alu instid0(VALU_DEP_1) | instskip(NEXT) | instid1(VALU_DEP_2)
	v_lshlrev_b64_e64 v[44:45], v44, -1
	v_lshlrev_b64_e64 v[78:79], v78, 1
	s_delay_alu instid0(VALU_DEP_2) | instskip(NEXT) | instid1(VALU_DEP_3)
	v_bfi_b32 v89, v45, 0, 0
	v_bfi_b32 v88, v44, 0, v46
	v_lshrrev_b64 v[44:45], v77, v[46:47]
	s_delay_alu instid0(VALU_DEP_1) | instskip(NEXT) | instid1(VALU_DEP_3)
	v_mov_b64_e32 v[46:47], v[44:45]
	v_cmpx_eq_u64_e64 v[88:89], v[78:79]
; %bb.607:                              ;   in Loop: Header=BB4_323 Depth=3
	v_bfe_u32 v46, v44, 20, 1
	v_mov_b32_e32 v47, v65
	s_delay_alu instid0(VALU_DEP_1) | instskip(NEXT) | instid1(VALU_DEP_1)
	v_add_nc_u64_e32 v[46:47], v[44:45], v[46:47]
	v_add_nc_u64_e32 v[46:47], -1, v[46:47]
; %bb.608:                              ;   in Loop: Header=BB4_323 Depth=3
	s_or_b32 exec_lo, exec_lo, s22
	v_add_nc_u32_e32 v17, 0xffffff81, v76
	v_lshrrev_b32_e32 v45, 23, v44
	s_mov_b32 s8, exec_lo
	s_delay_alu instid0(VALU_DEP_2) | instskip(NEXT) | instid1(VALU_DEP_1)
	v_cndmask_b32_e64 v17, v17, 0xffffff82, vcc_lo
	v_add3_u32 v47, v77, v17, v45
	v_and_b32_e32 v17, 0xfffff, v46
	s_delay_alu instid0(VALU_DEP_2) | instskip(NEXT) | instid1(VALU_DEP_2)
	v_dual_mov_b32 v45, v65 :: v_dual_add_nc_u32 v46, 6, v47
	v_add_nc_u32_e32 v44, v17, v44
                                        ; implicit-def: $vgpr17
	s_delay_alu instid0(VALU_DEP_2)
	v_cmpx_ne_u32_e32 0, v46
	s_xor_b32 s8, exec_lo, s8
; %bb.609:                              ;   in Loop: Header=BB4_323 Depth=3
	s_delay_alu instid0(VALU_DEP_2) | instskip(SKIP_1) | instid1(VALU_DEP_1)
	v_cmp_lt_u64_e32 vcc_lo, 0xffffff, v[44:45]
	v_add_nc_u32_e32 v17, 7, v47
	v_cndmask_b32_e32 v17, v46, v17, vcc_lo
	v_cndmask_b32_e64 v46, 0, 1, vcc_lo
	s_delay_alu instid0(VALU_DEP_1)
	v_lshrrev_b64 v[44:45], v46, v[44:45]
; %bb.610:                              ;   in Loop: Header=BB4_323 Depth=3
	s_and_not1_saveexec_b32 s8, s8
; %bb.611:                              ;   in Loop: Header=BB4_323 Depth=3
	s_delay_alu instid0(VALU_DEP_1)
	v_bfe_u32 v17, v44, 23, 1
; %bb.612:                              ;   in Loop: Header=BB4_323 Depth=3
	s_or_b32 exec_lo, exec_lo, s8
	s_delay_alu instid0(VALU_DEP_2) | instskip(NEXT) | instid1(VALU_DEP_2)
	v_lshrrev_b64 v[44:45], 20, v[44:45]
	v_cmp_gt_i32_e32 vcc_lo, 16, v17
	v_min_i32_e32 v46, 15, v17
	v_cmp_eq_u32_e64 s8, 0, v17
	s_delay_alu instid0(VALU_DEP_2) | instskip(SKIP_1) | instid1(VALU_DEP_2)
	v_dual_cndmask_b32 v44, 7, v44, vcc_lo :: v_dual_lshlrev_b32 v46, 3, v46
	v_cndmask_b32_e32 v45, 0, v45, vcc_lo
	v_and_b32_e32 v46, 0xf8, v46
	s_delay_alu instid0(VALU_DEP_2) | instskip(NEXT) | instid1(VALU_DEP_2)
	v_cmp_eq_u64_e32 vcc_lo, 0, v[44:45]
	v_and_or_b32 v17, v44, 7, v46
	s_and_b32 s8, s8, vcc_lo
	s_delay_alu instid0(VALU_DEP_1) | instid1(SALU_CYCLE_1)
	v_cndmask_b32_e64 v17, v17, 0, s8
	s_delay_alu instid0(VALU_DEP_1)
	v_or_b32_e32 v46, v17, v5
.LBB4_613:                              ;   in Loop: Header=BB4_323 Depth=3
	s_or_b32 exec_lo, exec_lo, s21
                                        ; implicit-def: $vgpr5
.LBB4_614:                              ;   in Loop: Header=BB4_323 Depth=3
	s_and_not1_saveexec_b32 s8, s20
; %bb.615:                              ;   in Loop: Header=BB4_323 Depth=3
	v_or_b32_e32 v46, 0x7e, v5
; %bb.616:                              ;   in Loop: Header=BB4_323 Depth=3
	s_or_b32 exec_lo, exec_lo, s8
                                        ; implicit-def: $vgpr5
.LBB4_617:                              ;   in Loop: Header=BB4_323 Depth=3
	s_and_not1_saveexec_b32 s8, s19
; %bb.618:                              ;   in Loop: Header=BB4_323 Depth=3
	v_or_b32_e32 v46, 0x7f, v5
; %bb.619:                              ;   in Loop: Header=BB4_323 Depth=3
	s_or_b32 exec_lo, exec_lo, s8
	v_dual_mov_b32 v5, 0 :: v_dual_mov_b32 v17, 0
	s_mov_b32 s8, exec_lo
	v_cmpx_lt_u32_e32 0xffffff, v16
	s_cbranch_execz .LBB4_627
; %bb.620:                              ;   in Loop: Header=BB4_323 Depth=3
	v_lshrrev_b32_e32 v44, 24, v16
	v_bfrev_b32_e32 v17, 1
	s_mov_b32 s19, exec_lo
	s_delay_alu instid0(VALU_DEP_2)
	v_cmpx_ne_u32_e32 0x80, v44
	s_cbranch_execz .LBB4_626
; %bb.621:                              ;   in Loop: Header=BB4_323 Depth=3
	v_bfe_u32 v47, v16, 24, 7
	v_mov_b32_e32 v17, 0x7f800001
	s_mov_b32 s20, exec_lo
	s_delay_alu instid0(VALU_DEP_2)
	v_cmpx_ne_u32_e32 0x7f, v47
	s_cbranch_execz .LBB4_625
; %bb.622:                              ;   in Loop: Header=BB4_323 Depth=3
	v_dual_mov_b32 v17, v65 :: v_dual_bitop2_b32 v16, 7, v44 bitop3:0x40
	v_lshrrev_b32_e32 v45, 3, v47
	s_mov_b32 s21, exec_lo
	v_cmpx_gt_u32_e32 8, v47
; %bb.623:                              ;   in Loop: Header=BB4_323 Depth=3
	s_delay_alu instid0(VALU_DEP_3) | instskip(NEXT) | instid1(VALU_DEP_1)
	v_clz_i32_u32_e32 v45, v16
	v_min_u32_e32 v45, 32, v45
	s_delay_alu instid0(VALU_DEP_1) | instskip(NEXT) | instid1(VALU_DEP_1)
	v_subrev_nc_u32_e32 v47, 28, v45
	v_lshlrev_b64_e32 v[16:17], v47, v[16:17]
	s_delay_alu instid0(VALU_DEP_1)
	v_dual_sub_nc_u32 v45, 29, v45 :: v_dual_bitop2_b32 v16, 7, v16 bitop3:0x40
; %bb.624:                              ;   in Loop: Header=BB4_323 Depth=3
	s_or_b32 exec_lo, exec_lo, s21
	v_lshlrev_b32_e32 v17, 24, v44
	s_delay_alu instid0(VALU_DEP_2) | instskip(NEXT) | instid1(VALU_DEP_3)
	v_lshlrev_b32_e32 v16, 20, v16
	v_lshl_add_u32 v44, v45, 23, 0x3c000000
	s_delay_alu instid0(VALU_DEP_3) | instskip(NEXT) | instid1(VALU_DEP_1)
	v_and_b32_e32 v17, 0x80000000, v17
	v_or3_b32 v17, v16, v17, v44
.LBB4_625:                              ;   in Loop: Header=BB4_323 Depth=3
	s_or_b32 exec_lo, exec_lo, s20
.LBB4_626:                              ;   in Loop: Header=BB4_323 Depth=3
	s_delay_alu instid0(SALU_CYCLE_1)
	s_or_b32 exec_lo, exec_lo, s19
.LBB4_627:                              ;   in Loop: Header=BB4_323 Depth=3
	s_delay_alu instid0(SALU_CYCLE_1) | instskip(NEXT) | instid1(SALU_CYCLE_1)
	s_or_b32 exec_lo, exec_lo, s8
	s_mov_b32 s8, exec_lo
	v_cmpx_lt_u32_e32 0xffffff, v4
	s_cbranch_execz .LBB4_635
; %bb.628:                              ;   in Loop: Header=BB4_323 Depth=3
	v_lshrrev_b32_e32 v16, 24, v4
	v_bfrev_b32_e32 v5, 1
	s_mov_b32 s19, exec_lo
	s_delay_alu instid0(VALU_DEP_2)
	v_cmpx_ne_u32_e32 0x80, v16
	s_cbranch_execz .LBB4_634
; %bb.629:                              ;   in Loop: Header=BB4_323 Depth=3
	v_bfe_u32 v45, v4, 24, 7
	v_mov_b32_e32 v5, 0x7f800001
	s_mov_b32 s20, exec_lo
	s_delay_alu instid0(VALU_DEP_2)
	v_cmpx_ne_u32_e32 0x7f, v45
	s_cbranch_execz .LBB4_633
; %bb.630:                              ;   in Loop: Header=BB4_323 Depth=3
	v_dual_mov_b32 v5, v65 :: v_dual_bitop2_b32 v4, 7, v16 bitop3:0x40
	v_lshrrev_b32_e32 v44, 3, v45
	s_mov_b32 s21, exec_lo
	v_cmpx_gt_u32_e32 8, v45
; %bb.631:                              ;   in Loop: Header=BB4_323 Depth=3
	s_delay_alu instid0(VALU_DEP_3) | instskip(NEXT) | instid1(VALU_DEP_1)
	v_clz_i32_u32_e32 v44, v4
	v_min_u32_e32 v44, 32, v44
	s_delay_alu instid0(VALU_DEP_1) | instskip(SKIP_1) | instid1(VALU_DEP_2)
	v_subrev_nc_u32_e32 v45, 28, v44
	v_sub_nc_u32_e32 v44, 29, v44
	v_lshlrev_b64_e32 v[4:5], v45, v[4:5]
	s_delay_alu instid0(VALU_DEP_1)
	v_and_b32_e32 v4, 7, v4
; %bb.632:                              ;   in Loop: Header=BB4_323 Depth=3
	s_or_b32 exec_lo, exec_lo, s21
	v_lshlrev_b32_e32 v5, 24, v16
	s_delay_alu instid0(VALU_DEP_2) | instskip(SKIP_1) | instid1(VALU_DEP_3)
	v_lshlrev_b32_e32 v4, 20, v4
	v_lshl_add_u32 v16, v44, 23, 0x3c000000
	v_and_b32_e32 v5, 0x80000000, v5
	s_delay_alu instid0(VALU_DEP_1)
	v_or3_b32 v5, v4, v5, v16
.LBB4_633:                              ;   in Loop: Header=BB4_323 Depth=3
	s_or_b32 exec_lo, exec_lo, s20
.LBB4_634:                              ;   in Loop: Header=BB4_323 Depth=3
	s_delay_alu instid0(SALU_CYCLE_1)
	s_or_b32 exec_lo, exec_lo, s19
.LBB4_635:                              ;   in Loop: Header=BB4_323 Depth=3
	s_delay_alu instid0(SALU_CYCLE_1) | instskip(NEXT) | instid1(VALU_DEP_1)
	s_or_b32 exec_lo, exec_lo, s8
	v_add_f32_e32 v4, v17, v5
	v_mov_b32_e32 v17, v65
                                        ; implicit-def: $vgpr47
	s_mov_b32 s8, exec_lo
	s_delay_alu instid0(VALU_DEP_2) | instskip(SKIP_1) | instid1(VALU_DEP_2)
	v_and_b32_e32 v16, 0x7f800000, v4
	v_lshrrev_b32_e32 v5, 24, v4
	v_cmpx_ne_u64_e32 0x7f800000, v[16:17]
	s_xor_b32 s19, exec_lo, s8
	s_cbranch_execz .LBB4_649
; %bb.636:                              ;   in Loop: Header=BB4_323 Depth=3
	v_and_b32_e32 v16, 0x7fffffff, v4
	v_mov_b32_e32 v17, v65
	v_and_b32_e32 v44, 0x80, v5
                                        ; implicit-def: $vgpr47
	s_mov_b32 s8, exec_lo
	s_delay_alu instid0(VALU_DEP_2)
	v_cmpx_gt_u64_e32 0x43e00001, v[16:17]
	s_xor_b32 s20, exec_lo, s8
	s_cbranch_execz .LBB4_646
; %bb.637:                              ;   in Loop: Header=BB4_323 Depth=3
	v_mov_b32_e32 v47, 0
	s_mov_b32 s21, exec_lo
	v_cmpx_ne_u32_e32 0, v4
	s_cbranch_execz .LBB4_645
; %bb.638:                              ;   in Loop: Header=BB4_323 Depth=3
	v_bfe_u32 v45, v4, 23, 8
	v_and_b32_e32 v16, 0x7fffff, v4
	s_mov_b32 s22, exec_lo
	s_delay_alu instid0(VALU_DEP_2) | instskip(NEXT) | instid1(VALU_DEP_2)
	v_cmp_gt_u32_e32 vcc_lo, 0x7a, v45
	v_or_b32_e32 v17, 0x800000, v16
	v_sub_nc_u32_e32 v5, 0x79, v45
	s_delay_alu instid0(VALU_DEP_1) | instskip(SKIP_1) | instid1(VALU_DEP_2)
	v_cndmask_b32_e32 v5, 0, v5, vcc_lo
	v_cmp_eq_u32_e32 vcc_lo, 0, v45
	v_cndmask_b32_e64 v47, v5, 0x78, vcc_lo
	v_cndmask_b32_e32 v16, v17, v16, vcc_lo
	s_delay_alu instid0(VALU_DEP_2) | instskip(SKIP_1) | instid1(VALU_DEP_2)
	v_dual_mov_b32 v17, v65 :: v_dual_add_nc_u32 v76, 19, v47
	v_add_nc_u32_e32 v4, 20, v47
	v_lshlrev_b64_e64 v[76:77], v76, 1
	s_delay_alu instid0(VALU_DEP_2) | instskip(NEXT) | instid1(VALU_DEP_1)
	v_lshlrev_b64_e64 v[4:5], v4, -1
	v_bfi_b32 v79, v5, 0, 0
	s_delay_alu instid0(VALU_DEP_2) | instskip(SKIP_1) | instid1(VALU_DEP_1)
	v_bfi_b32 v78, v4, 0, v16
	v_lshrrev_b64 v[4:5], v47, v[16:17]
	v_mov_b64_e32 v[16:17], v[4:5]
	s_delay_alu instid0(VALU_DEP_3)
	v_cmpx_eq_u64_e64 v[78:79], v[76:77]
; %bb.639:                              ;   in Loop: Header=BB4_323 Depth=3
	v_bfe_u32 v16, v4, 20, 1
	v_mov_b32_e32 v17, v65
	s_delay_alu instid0(VALU_DEP_1) | instskip(NEXT) | instid1(VALU_DEP_1)
	v_add_nc_u64_e32 v[16:17], v[4:5], v[16:17]
	v_add_nc_u64_e32 v[16:17], -1, v[16:17]
; %bb.640:                              ;   in Loop: Header=BB4_323 Depth=3
	s_or_b32 exec_lo, exec_lo, s22
	v_add_nc_u32_e32 v5, 0xffffff81, v45
	v_lshrrev_b32_e32 v17, 23, v4
	s_mov_b32 s8, exec_lo
	s_delay_alu instid0(VALU_DEP_2) | instskip(NEXT) | instid1(VALU_DEP_1)
	v_cndmask_b32_e64 v5, v5, 0xffffff82, vcc_lo
	v_add3_u32 v17, v47, v5, v17
	v_and_b32_e32 v5, 0xfffff, v16
                                        ; implicit-def: $vgpr16
	s_delay_alu instid0(VALU_DEP_1) | instskip(SKIP_1) | instid1(VALU_DEP_2)
	v_dual_add_nc_u32 v45, 6, v17 :: v_dual_add_nc_u32 v4, v5, v4
	v_mov_b32_e32 v5, v65
	v_cmpx_ne_u32_e32 0, v45
	s_xor_b32 s8, exec_lo, s8
; %bb.641:                              ;   in Loop: Header=BB4_323 Depth=3
	s_delay_alu instid0(VALU_DEP_2) | instskip(SKIP_2) | instid1(VALU_DEP_2)
	v_cmp_lt_u64_e32 vcc_lo, 0xffffff, v[4:5]
	v_add_nc_u32_e32 v16, 7, v17
	v_cndmask_b32_e64 v17, 0, 1, vcc_lo
	v_cndmask_b32_e32 v16, v45, v16, vcc_lo
	s_delay_alu instid0(VALU_DEP_2)
	v_lshrrev_b64 v[4:5], v17, v[4:5]
; %bb.642:                              ;   in Loop: Header=BB4_323 Depth=3
	s_and_not1_saveexec_b32 s8, s8
; %bb.643:                              ;   in Loop: Header=BB4_323 Depth=3
	s_delay_alu instid0(VALU_DEP_1)
	v_bfe_u32 v16, v4, 23, 1
; %bb.644:                              ;   in Loop: Header=BB4_323 Depth=3
	s_or_b32 exec_lo, exec_lo, s8
	s_delay_alu instid0(VALU_DEP_2) | instskip(NEXT) | instid1(VALU_DEP_2)
	v_lshrrev_b64 v[4:5], 20, v[4:5]
	v_cmp_gt_i32_e32 vcc_lo, 16, v16
	v_min_i32_e32 v17, 15, v16
	v_cmp_eq_u32_e64 s8, 0, v16
	s_delay_alu instid0(VALU_DEP_4) | instskip(NEXT) | instid1(VALU_DEP_3)
	v_cndmask_b32_e32 v5, 0, v5, vcc_lo
	v_dual_cndmask_b32 v4, 7, v4 :: v_dual_lshlrev_b32 v17, 3, v17
	s_delay_alu instid0(VALU_DEP_1) | instskip(NEXT) | instid1(VALU_DEP_2)
	v_and_b32_e32 v17, 0xf8, v17
	v_cmp_eq_u64_e32 vcc_lo, 0, v[4:5]
	s_delay_alu instid0(VALU_DEP_2)
	v_and_or_b32 v4, v4, 7, v17
	s_and_b32 s8, s8, vcc_lo
	s_delay_alu instid0(VALU_DEP_1) | instid1(SALU_CYCLE_1)
	v_cndmask_b32_e64 v4, v4, 0, s8
	s_delay_alu instid0(VALU_DEP_1)
	v_or_b32_e32 v47, v4, v44
.LBB4_645:                              ;   in Loop: Header=BB4_323 Depth=3
	s_or_b32 exec_lo, exec_lo, s21
                                        ; implicit-def: $vgpr44
.LBB4_646:                              ;   in Loop: Header=BB4_323 Depth=3
	s_and_not1_saveexec_b32 s8, s20
; %bb.647:                              ;   in Loop: Header=BB4_323 Depth=3
	v_or_b32_e32 v47, 0x7e, v44
; %bb.648:                              ;   in Loop: Header=BB4_323 Depth=3
	s_or_b32 exec_lo, exec_lo, s8
                                        ; implicit-def: $vgpr5
.LBB4_649:                              ;   in Loop: Header=BB4_323 Depth=3
	s_and_not1_saveexec_b32 s8, s19
; %bb.650:                              ;   in Loop: Header=BB4_323 Depth=3
	v_or_b32_e32 v47, 0x7f, v5
; %bb.651:                              ;   in Loop: Header=BB4_323 Depth=3
	s_or_b32 exec_lo, exec_lo, s8
	v_and_b32_e32 v4, 0xff, v18
	v_dual_mov_b32 v16, 0 :: v_dual_mov_b32 v17, 0
	s_mov_b32 s8, exec_lo
	s_delay_alu instid0(VALU_DEP_2)
	v_cmpx_ne_u16_e32 0, v4
	s_cbranch_execz .LBB4_657
; %bb.652:                              ;   in Loop: Header=BB4_323 Depth=3
	v_bfrev_b32_e32 v17, 1
	s_mov_b32 s19, exec_lo
	v_cmpx_ne_u16_e32 0x80, v4
	s_cbranch_execz .LBB4_656
; %bb.653:                              ;   in Loop: Header=BB4_323 Depth=3
	v_and_b32_e32 v4, 0x7f, v18
	v_mov_b32_e32 v17, 0x7f800001
	s_mov_b32 s20, exec_lo
	s_delay_alu instid0(VALU_DEP_2)
	v_cmpx_ne_u32_e32 0x7f, v4
	s_cbranch_execz .LBB4_655
; %bb.654:                              ;   in Loop: Header=BB4_323 Depth=3
	v_dual_lshrrev_b32 v17, 3, v4 :: v_dual_bitop2_b32 v5, 7, v18 bitop3:0x40
	v_cmp_gt_u32_e32 vcc_lo, 8, v4
	s_delay_alu instid0(VALU_DEP_2) | instskip(NEXT) | instid1(VALU_DEP_1)
	v_clz_i32_u32_e32 v5, v5
	v_min_u32_e32 v5, 32, v5
	s_delay_alu instid0(VALU_DEP_1) | instskip(NEXT) | instid1(VALU_DEP_1)
	v_subrev_nc_u32_e32 v44, 28, v5
	v_dual_cndmask_b32 v4, 0, v44 :: v_dual_sub_nc_u32 v5, 29, v5
	s_delay_alu instid0(VALU_DEP_1) | instskip(NEXT) | instid1(VALU_DEP_2)
	v_cndmask_b32_e32 v17, v17, v5, vcc_lo
	v_lshlrev_b64_e32 v[4:5], v4, v[18:19]
	v_lshlrev_b32_e32 v5, 24, v18
	s_delay_alu instid0(VALU_DEP_3) | instskip(NEXT) | instid1(VALU_DEP_2)
	v_lshl_add_u32 v17, v17, 23, 0x3c000000
	v_and_b32_e32 v5, 0x80000000, v5
	s_delay_alu instid0(VALU_DEP_4) | instskip(NEXT) | instid1(VALU_DEP_1)
	v_lshlrev_b32_e32 v4, 20, v4
	v_and_b32_e32 v4, 0x700000, v4
	s_delay_alu instid0(VALU_DEP_1)
	v_or3_b32 v17, v4, v5, v17
.LBB4_655:                              ;   in Loop: Header=BB4_323 Depth=3
	s_or_b32 exec_lo, exec_lo, s20
.LBB4_656:                              ;   in Loop: Header=BB4_323 Depth=3
	s_delay_alu instid0(SALU_CYCLE_1)
	s_or_b32 exec_lo, exec_lo, s19
.LBB4_657:                              ;   in Loop: Header=BB4_323 Depth=3
	s_delay_alu instid0(SALU_CYCLE_1) | instskip(SKIP_4) | instid1(VALU_DEP_2)
	s_or_b32 exec_lo, exec_lo, s8
	v_dual_lshlrev_b32 v4, 24, v75 :: v_dual_lshlrev_b32 v19, 16, v74
	v_lshl_or_b32 v73, v73, 8, v63
	v_mov_b32_e32 v5, v65
	s_mov_b32 s8, exec_lo
	v_or3_b32 v4, v19, v4, v73
	v_cmpx_ne_u32_e32 0, v63
	s_cbranch_execz .LBB4_663
; %bb.658:                              ;   in Loop: Header=BB4_323 Depth=3
	v_bfrev_b32_e32 v16, 1
	s_mov_b32 s19, exec_lo
	v_cmpx_ne_u32_e32 0x80, v63
	s_cbranch_execz .LBB4_662
; %bb.659:                              ;   in Loop: Header=BB4_323 Depth=3
	v_and_b32_e32 v19, 0x7f, v63
	v_mov_b32_e32 v16, 0x7f800001
	s_mov_b32 s20, exec_lo
	s_delay_alu instid0(VALU_DEP_2)
	v_cmpx_ne_u32_e32 0x7f, v19
	s_cbranch_execz .LBB4_661
; %bb.660:                              ;   in Loop: Header=BB4_323 Depth=3
	v_cmp_gt_u32_e32 vcc_lo, 8, v19
	v_and_b32_e32 v16, 7, v63
	s_delay_alu instid0(VALU_DEP_1) | instskip(NEXT) | instid1(VALU_DEP_1)
	v_clz_i32_u32_e32 v16, v16
	v_min_u32_e32 v16, 32, v16
	v_lshrrev_b32_e32 v44, 3, v19
	s_delay_alu instid0(VALU_DEP_2) | instskip(NEXT) | instid1(VALU_DEP_1)
	v_subrev_nc_u32_e32 v45, 28, v16
	v_dual_cndmask_b32 v19, 0, v45 :: v_dual_sub_nc_u32 v16, 29, v16
	s_delay_alu instid0(VALU_DEP_1) | instskip(NEXT) | instid1(VALU_DEP_2)
	v_cndmask_b32_e32 v16, v44, v16, vcc_lo
	v_lshlrev_b64_e32 v[44:45], v19, v[4:5]
	v_lshlrev_b32_e32 v5, 24, v4
	s_delay_alu instid0(VALU_DEP_3) | instskip(NEXT) | instid1(VALU_DEP_2)
	v_lshl_add_u32 v16, v16, 23, 0x3c000000
	v_and_b32_e32 v5, 0x80000000, v5
	s_delay_alu instid0(VALU_DEP_4) | instskip(NEXT) | instid1(VALU_DEP_1)
	v_lshlrev_b32_e32 v19, 20, v44
	v_and_b32_e32 v19, 0x700000, v19
	s_delay_alu instid0(VALU_DEP_1)
	v_or3_b32 v16, v19, v5, v16
.LBB4_661:                              ;   in Loop: Header=BB4_323 Depth=3
	s_or_b32 exec_lo, exec_lo, s20
.LBB4_662:                              ;   in Loop: Header=BB4_323 Depth=3
	s_delay_alu instid0(SALU_CYCLE_1)
	s_or_b32 exec_lo, exec_lo, s19
.LBB4_663:                              ;   in Loop: Header=BB4_323 Depth=3
	s_delay_alu instid0(SALU_CYCLE_1) | instskip(NEXT) | instid1(VALU_DEP_1)
	s_or_b32 exec_lo, exec_lo, s8
	v_add_f32_e32 v16, v17, v16
	v_mov_b32_e32 v45, v65
                                        ; implicit-def: $vgpr19
	s_mov_b32 s8, exec_lo
	s_delay_alu instid0(VALU_DEP_2) | instskip(SKIP_1) | instid1(VALU_DEP_2)
	v_and_b32_e32 v44, 0x7f800000, v16
	v_lshrrev_b32_e32 v5, 24, v16
	v_cmpx_ne_u64_e32 0x7f800000, v[44:45]
	s_xor_b32 s19, exec_lo, s8
	s_cbranch_execz .LBB4_677
; %bb.664:                              ;   in Loop: Header=BB4_323 Depth=3
	v_and_b32_e32 v44, 0x7fffffff, v16
	v_mov_b32_e32 v45, v65
	v_and_b32_e32 v5, 0x80, v5
                                        ; implicit-def: $vgpr19
	s_mov_b32 s8, exec_lo
	s_delay_alu instid0(VALU_DEP_2)
	v_cmpx_gt_u64_e32 0x43e00001, v[44:45]
	s_xor_b32 s20, exec_lo, s8
	s_cbranch_execz .LBB4_674
; %bb.665:                              ;   in Loop: Header=BB4_323 Depth=3
	v_mov_b32_e32 v19, 0
	s_mov_b32 s21, exec_lo
	v_cmpx_ne_u32_e32 0, v16
	s_cbranch_execz .LBB4_673
; %bb.666:                              ;   in Loop: Header=BB4_323 Depth=3
	v_bfe_u32 v19, v16, 23, 8
	v_and_b32_e32 v44, 0x7fffff, v16
	s_mov_b32 s22, exec_lo
	s_delay_alu instid0(VALU_DEP_2) | instskip(NEXT) | instid1(VALU_DEP_2)
	v_cmp_gt_u32_e32 vcc_lo, 0x7a, v19
	v_or_b32_e32 v45, 0x800000, v44
	v_sub_nc_u32_e32 v17, 0x79, v19
	s_delay_alu instid0(VALU_DEP_1) | instskip(SKIP_1) | instid1(VALU_DEP_2)
	v_cndmask_b32_e32 v17, 0, v17, vcc_lo
	v_cmp_eq_u32_e32 vcc_lo, 0, v19
	v_cndmask_b32_e64 v63, v17, 0x78, vcc_lo
	v_cndmask_b32_e32 v44, v45, v44, vcc_lo
	s_delay_alu instid0(VALU_DEP_2) | instskip(SKIP_1) | instid1(VALU_DEP_2)
	v_dual_mov_b32 v45, v65 :: v_dual_add_nc_u32 v74, 19, v63
	v_add_nc_u32_e32 v16, 20, v63
	v_lshlrev_b64_e64 v[74:75], v74, 1
	s_delay_alu instid0(VALU_DEP_2) | instskip(NEXT) | instid1(VALU_DEP_1)
	v_lshlrev_b64_e64 v[16:17], v16, -1
	v_bfi_b32 v77, v17, 0, 0
	s_delay_alu instid0(VALU_DEP_2) | instskip(SKIP_1) | instid1(VALU_DEP_1)
	v_bfi_b32 v76, v16, 0, v44
	v_lshrrev_b64 v[16:17], v63, v[44:45]
	v_mov_b64_e32 v[44:45], v[16:17]
	s_delay_alu instid0(VALU_DEP_3)
	v_cmpx_eq_u64_e64 v[76:77], v[74:75]
; %bb.667:                              ;   in Loop: Header=BB4_323 Depth=3
	v_bfe_u32 v44, v16, 20, 1
	v_mov_b32_e32 v45, v65
	s_delay_alu instid0(VALU_DEP_1) | instskip(NEXT) | instid1(VALU_DEP_1)
	v_add_nc_u64_e32 v[44:45], v[16:17], v[44:45]
	v_add_nc_u64_e32 v[44:45], -1, v[44:45]
; %bb.668:                              ;   in Loop: Header=BB4_323 Depth=3
	s_or_b32 exec_lo, exec_lo, s22
	v_add_nc_u32_e32 v17, 0xffffff81, v19
	v_lshrrev_b32_e32 v19, 23, v16
	s_mov_b32 s8, exec_lo
	s_delay_alu instid0(VALU_DEP_2) | instskip(NEXT) | instid1(VALU_DEP_1)
	v_cndmask_b32_e64 v17, v17, 0xffffff82, vcc_lo
	v_add3_u32 v45, v63, v17, v19
	v_and_b32_e32 v17, 0xfffff, v44
                                        ; implicit-def: $vgpr19
	s_delay_alu instid0(VALU_DEP_1) | instskip(SKIP_1) | instid1(VALU_DEP_2)
	v_dual_add_nc_u32 v44, 6, v45 :: v_dual_add_nc_u32 v16, v17, v16
	v_mov_b32_e32 v17, v65
	v_cmpx_ne_u32_e32 0, v44
	s_xor_b32 s8, exec_lo, s8
; %bb.669:                              ;   in Loop: Header=BB4_323 Depth=3
	s_delay_alu instid0(VALU_DEP_2) | instskip(SKIP_1) | instid1(VALU_DEP_1)
	v_cmp_lt_u64_e32 vcc_lo, 0xffffff, v[16:17]
	v_add_nc_u32_e32 v19, 7, v45
	v_cndmask_b32_e32 v19, v44, v19, vcc_lo
	v_cndmask_b32_e64 v44, 0, 1, vcc_lo
	s_delay_alu instid0(VALU_DEP_1)
	v_lshrrev_b64 v[16:17], v44, v[16:17]
; %bb.670:                              ;   in Loop: Header=BB4_323 Depth=3
	s_and_not1_saveexec_b32 s8, s8
; %bb.671:                              ;   in Loop: Header=BB4_323 Depth=3
	s_delay_alu instid0(VALU_DEP_1)
	v_bfe_u32 v19, v16, 23, 1
; %bb.672:                              ;   in Loop: Header=BB4_323 Depth=3
	s_or_b32 exec_lo, exec_lo, s8
	s_delay_alu instid0(VALU_DEP_2) | instskip(NEXT) | instid1(VALU_DEP_2)
	v_lshrrev_b64 v[16:17], 20, v[16:17]
	v_cmp_gt_i32_e32 vcc_lo, 16, v19
	v_min_i32_e32 v44, 15, v19
	v_cmp_eq_u32_e64 s8, 0, v19
	s_delay_alu instid0(VALU_DEP_2) | instskip(SKIP_1) | instid1(VALU_DEP_2)
	v_dual_cndmask_b32 v17, 0, v17 :: v_dual_lshlrev_b32 v44, 3, v44
	v_cndmask_b32_e32 v16, 7, v16, vcc_lo
	v_and_b32_e32 v44, 0xf8, v44
	s_delay_alu instid0(VALU_DEP_2) | instskip(NEXT) | instid1(VALU_DEP_2)
	v_cmp_eq_u64_e32 vcc_lo, 0, v[16:17]
	v_and_or_b32 v16, v16, 7, v44
	s_and_b32 s8, s8, vcc_lo
	s_delay_alu instid0(VALU_DEP_1) | instid1(SALU_CYCLE_1)
	v_cndmask_b32_e64 v16, v16, 0, s8
	s_delay_alu instid0(VALU_DEP_1)
	v_or_b32_e32 v19, v16, v5
.LBB4_673:                              ;   in Loop: Header=BB4_323 Depth=3
	s_or_b32 exec_lo, exec_lo, s21
                                        ; implicit-def: $vgpr5
.LBB4_674:                              ;   in Loop: Header=BB4_323 Depth=3
	s_and_not1_saveexec_b32 s8, s20
; %bb.675:                              ;   in Loop: Header=BB4_323 Depth=3
	v_or_b32_e32 v19, 0x7e, v5
; %bb.676:                              ;   in Loop: Header=BB4_323 Depth=3
	s_or_b32 exec_lo, exec_lo, s8
                                        ; implicit-def: $vgpr5
.LBB4_677:                              ;   in Loop: Header=BB4_323 Depth=3
	s_and_not1_saveexec_b32 s8, s19
; %bb.678:                              ;   in Loop: Header=BB4_323 Depth=3
	v_or_b32_e32 v19, 0x7f, v5
; %bb.679:                              ;   in Loop: Header=BB4_323 Depth=3
	s_or_b32 exec_lo, exec_lo, s8
	v_lshrrev_b16 v16, 8, v18
	v_dual_mov_b32 v5, 0 :: v_dual_mov_b32 v44, 0
	s_mov_b32 s8, exec_lo
	s_delay_alu instid0(VALU_DEP_2)
	v_cmpx_ne_u16_e32 0, v16
	s_cbranch_execz .LBB4_687
; %bb.680:                              ;   in Loop: Header=BB4_323 Depth=3
	v_bfrev_b32_e32 v44, 1
	s_mov_b32 s19, exec_lo
	v_cmpx_ne_u16_e32 0x80, v16
	s_cbranch_execz .LBB4_686
; %bb.681:                              ;   in Loop: Header=BB4_323 Depth=3
	v_and_b32_e32 v16, 0xffff, v16
	v_mov_b32_e32 v44, 0x7f800001
	s_mov_b32 s20, exec_lo
	s_delay_alu instid0(VALU_DEP_2) | instskip(NEXT) | instid1(VALU_DEP_1)
	v_and_b32_e32 v45, 0x7f, v16
	v_cmpx_ne_u32_e32 0x7f, v45
	s_cbranch_execz .LBB4_685
; %bb.682:                              ;   in Loop: Header=BB4_323 Depth=3
	v_dual_mov_b32 v17, v65 :: v_dual_bitop2_b32 v16, 7, v16 bitop3:0x40
	v_lshrrev_b32_e32 v44, 3, v45
	s_mov_b32 s21, exec_lo
	v_cmpx_gt_u32_e32 8, v45
; %bb.683:                              ;   in Loop: Header=BB4_323 Depth=3
	s_delay_alu instid0(VALU_DEP_3) | instskip(NEXT) | instid1(VALU_DEP_1)
	v_clz_i32_u32_e32 v44, v16
	v_min_u32_e32 v44, 32, v44
	s_delay_alu instid0(VALU_DEP_1) | instskip(SKIP_1) | instid1(VALU_DEP_2)
	v_subrev_nc_u32_e32 v45, 28, v44
	v_sub_nc_u32_e32 v44, 29, v44
	v_lshlrev_b64_e32 v[16:17], v45, v[16:17]
	s_delay_alu instid0(VALU_DEP_1)
	v_and_b32_e32 v16, 7, v16
; %bb.684:                              ;   in Loop: Header=BB4_323 Depth=3
	s_or_b32 exec_lo, exec_lo, s21
	s_delay_alu instid0(VALU_DEP_1) | instskip(SKIP_1) | instid1(VALU_DEP_2)
	v_dual_lshlrev_b32 v17, 16, v18 :: v_dual_lshlrev_b32 v16, 20, v16
	v_lshl_add_u32 v44, v44, 23, 0x3c000000
	v_and_b32_e32 v17, 0x80000000, v17
	s_delay_alu instid0(VALU_DEP_1)
	v_or3_b32 v44, v16, v17, v44
.LBB4_685:                              ;   in Loop: Header=BB4_323 Depth=3
	s_or_b32 exec_lo, exec_lo, s20
.LBB4_686:                              ;   in Loop: Header=BB4_323 Depth=3
	s_delay_alu instid0(SALU_CYCLE_1)
	s_or_b32 exec_lo, exec_lo, s19
.LBB4_687:                              ;   in Loop: Header=BB4_323 Depth=3
	s_delay_alu instid0(SALU_CYCLE_1) | instskip(SKIP_2) | instid1(VALU_DEP_1)
	s_or_b32 exec_lo, exec_lo, s8
	v_lshrrev_b16 v16, 8, v73
	s_mov_b32 s8, exec_lo
	v_cmpx_ne_u16_e32 0, v16
	s_cbranch_execz .LBB4_695
; %bb.688:                              ;   in Loop: Header=BB4_323 Depth=3
	v_bfrev_b32_e32 v5, 1
	s_mov_b32 s19, exec_lo
	v_cmpx_ne_u16_e32 0x80, v16
	s_cbranch_execz .LBB4_694
; %bb.689:                              ;   in Loop: Header=BB4_323 Depth=3
	v_and_b32_e32 v16, 0xffff, v16
	v_mov_b32_e32 v5, 0x7f800001
	s_mov_b32 s20, exec_lo
	s_delay_alu instid0(VALU_DEP_2) | instskip(NEXT) | instid1(VALU_DEP_1)
	v_and_b32_e32 v45, 0x7f, v16
	v_cmpx_ne_u32_e32 0x7f, v45
	s_cbranch_execz .LBB4_693
; %bb.690:                              ;   in Loop: Header=BB4_323 Depth=3
	v_dual_mov_b32 v17, v65 :: v_dual_bitop2_b32 v16, 7, v16 bitop3:0x40
	v_lshrrev_b32_e32 v5, 3, v45
	s_mov_b32 s21, exec_lo
	v_cmpx_gt_u32_e32 8, v45
; %bb.691:                              ;   in Loop: Header=BB4_323 Depth=3
	s_delay_alu instid0(VALU_DEP_3) | instskip(NEXT) | instid1(VALU_DEP_1)
	v_clz_i32_u32_e32 v5, v16
	v_min_u32_e32 v5, 32, v5
	s_delay_alu instid0(VALU_DEP_1) | instskip(NEXT) | instid1(VALU_DEP_1)
	v_subrev_nc_u32_e32 v45, 28, v5
	v_lshlrev_b64_e32 v[16:17], v45, v[16:17]
	s_delay_alu instid0(VALU_DEP_1)
	v_dual_sub_nc_u32 v5, 29, v5 :: v_dual_bitop2_b32 v16, 7, v16 bitop3:0x40
; %bb.692:                              ;   in Loop: Header=BB4_323 Depth=3
	s_or_b32 exec_lo, exec_lo, s21
	s_delay_alu instid0(VALU_DEP_1) | instskip(NEXT) | instid1(VALU_DEP_2)
	v_dual_lshlrev_b32 v17, 16, v73 :: v_dual_lshlrev_b32 v16, 20, v16
	v_lshl_add_u32 v5, v5, 23, 0x3c000000
	s_delay_alu instid0(VALU_DEP_2) | instskip(NEXT) | instid1(VALU_DEP_1)
	v_and_b32_e32 v17, 0x80000000, v17
	v_or3_b32 v5, v16, v17, v5
.LBB4_693:                              ;   in Loop: Header=BB4_323 Depth=3
	s_or_b32 exec_lo, exec_lo, s20
.LBB4_694:                              ;   in Loop: Header=BB4_323 Depth=3
	s_delay_alu instid0(SALU_CYCLE_1)
	s_or_b32 exec_lo, exec_lo, s19
.LBB4_695:                              ;   in Loop: Header=BB4_323 Depth=3
	s_delay_alu instid0(SALU_CYCLE_1) | instskip(NEXT) | instid1(VALU_DEP_1)
	s_or_b32 exec_lo, exec_lo, s8
	v_dual_add_f32 v16, v44, v5 :: v_dual_mov_b32 v45, v65
                                        ; implicit-def: $vgpr63
	s_mov_b32 s8, exec_lo
	s_delay_alu instid0(VALU_DEP_1) | instskip(SKIP_1) | instid1(VALU_DEP_2)
	v_and_b32_e32 v44, 0x7f800000, v16
	v_lshrrev_b32_e32 v5, 24, v16
	v_cmpx_ne_u64_e32 0x7f800000, v[44:45]
	s_xor_b32 s19, exec_lo, s8
	s_cbranch_execz .LBB4_709
; %bb.696:                              ;   in Loop: Header=BB4_323 Depth=3
	v_and_b32_e32 v44, 0x7fffffff, v16
	v_mov_b32_e32 v45, v65
	v_and_b32_e32 v5, 0x80, v5
                                        ; implicit-def: $vgpr63
	s_mov_b32 s8, exec_lo
	s_delay_alu instid0(VALU_DEP_2)
	v_cmpx_gt_u64_e32 0x43e00001, v[44:45]
	s_xor_b32 s20, exec_lo, s8
	s_cbranch_execz .LBB4_706
; %bb.697:                              ;   in Loop: Header=BB4_323 Depth=3
	v_mov_b32_e32 v63, 0
	s_mov_b32 s21, exec_lo
	v_cmpx_ne_u32_e32 0, v16
	s_cbranch_execz .LBB4_705
; %bb.698:                              ;   in Loop: Header=BB4_323 Depth=3
	v_bfe_u32 v63, v16, 23, 8
	v_and_b32_e32 v44, 0x7fffff, v16
	s_mov_b32 s22, exec_lo
	s_delay_alu instid0(VALU_DEP_2) | instskip(NEXT) | instid1(VALU_DEP_2)
	v_cmp_gt_u32_e32 vcc_lo, 0x7a, v63
	v_or_b32_e32 v45, 0x800000, v44
	v_sub_nc_u32_e32 v17, 0x79, v63
	s_delay_alu instid0(VALU_DEP_1) | instskip(SKIP_1) | instid1(VALU_DEP_4)
	v_cndmask_b32_e32 v17, 0, v17, vcc_lo
	v_cmp_eq_u32_e32 vcc_lo, 0, v63
	v_cndmask_b32_e32 v44, v45, v44, vcc_lo
	v_mov_b32_e32 v45, v65
	s_delay_alu instid0(VALU_DEP_4) | instskip(NEXT) | instid1(VALU_DEP_1)
	v_cndmask_b32_e64 v73, v17, 0x78, vcc_lo
	v_dual_add_nc_u32 v16, 20, v73 :: v_dual_add_nc_u32 v74, 19, v73
	s_delay_alu instid0(VALU_DEP_1) | instskip(NEXT) | instid1(VALU_DEP_2)
	v_lshlrev_b64_e64 v[16:17], v16, -1
	v_lshlrev_b64_e64 v[74:75], v74, 1
	s_delay_alu instid0(VALU_DEP_2) | instskip(NEXT) | instid1(VALU_DEP_3)
	v_bfi_b32 v77, v17, 0, 0
	v_bfi_b32 v76, v16, 0, v44
	v_lshrrev_b64 v[16:17], v73, v[44:45]
	s_delay_alu instid0(VALU_DEP_1) | instskip(NEXT) | instid1(VALU_DEP_3)
	v_mov_b64_e32 v[44:45], v[16:17]
	v_cmpx_eq_u64_e64 v[76:77], v[74:75]
; %bb.699:                              ;   in Loop: Header=BB4_323 Depth=3
	v_bfe_u32 v44, v16, 20, 1
	v_mov_b32_e32 v45, v65
	s_delay_alu instid0(VALU_DEP_1) | instskip(NEXT) | instid1(VALU_DEP_1)
	v_add_nc_u64_e32 v[44:45], v[16:17], v[44:45]
	v_add_nc_u64_e32 v[44:45], -1, v[44:45]
; %bb.700:                              ;   in Loop: Header=BB4_323 Depth=3
	s_or_b32 exec_lo, exec_lo, s22
	v_add_nc_u32_e32 v17, 0xffffff81, v63
	v_lshrrev_b32_e32 v45, 23, v16
	s_mov_b32 s8, exec_lo
	s_delay_alu instid0(VALU_DEP_2) | instskip(NEXT) | instid1(VALU_DEP_1)
	v_cndmask_b32_e64 v17, v17, 0xffffff82, vcc_lo
	v_add3_u32 v45, v73, v17, v45
	v_and_b32_e32 v17, 0xfffff, v44
                                        ; implicit-def: $vgpr44
	s_delay_alu instid0(VALU_DEP_1) | instskip(SKIP_1) | instid1(VALU_DEP_2)
	v_dual_add_nc_u32 v63, 6, v45 :: v_dual_add_nc_u32 v16, v17, v16
	v_mov_b32_e32 v17, v65
	v_cmpx_ne_u32_e32 0, v63
	s_xor_b32 s8, exec_lo, s8
; %bb.701:                              ;   in Loop: Header=BB4_323 Depth=3
	s_delay_alu instid0(VALU_DEP_2) | instskip(SKIP_2) | instid1(VALU_DEP_2)
	v_cmp_lt_u64_e32 vcc_lo, 0xffffff, v[16:17]
	v_add_nc_u32_e32 v44, 7, v45
	v_cndmask_b32_e64 v45, 0, 1, vcc_lo
	v_cndmask_b32_e32 v44, v63, v44, vcc_lo
	s_delay_alu instid0(VALU_DEP_2)
	v_lshrrev_b64 v[16:17], v45, v[16:17]
; %bb.702:                              ;   in Loop: Header=BB4_323 Depth=3
	s_and_not1_saveexec_b32 s8, s8
; %bb.703:                              ;   in Loop: Header=BB4_323 Depth=3
	s_delay_alu instid0(VALU_DEP_1)
	v_bfe_u32 v44, v16, 23, 1
; %bb.704:                              ;   in Loop: Header=BB4_323 Depth=3
	s_or_b32 exec_lo, exec_lo, s8
	s_delay_alu instid0(VALU_DEP_2) | instskip(NEXT) | instid1(VALU_DEP_2)
	v_lshrrev_b64 v[16:17], 20, v[16:17]
	v_cmp_gt_i32_e32 vcc_lo, 16, v44
	v_min_i32_e32 v45, 15, v44
	v_cmp_eq_u32_e64 s8, 0, v44
	s_delay_alu instid0(VALU_DEP_4) | instskip(NEXT) | instid1(VALU_DEP_3)
	v_cndmask_b32_e32 v17, 0, v17, vcc_lo
	v_dual_cndmask_b32 v16, 7, v16 :: v_dual_lshlrev_b32 v45, 3, v45
	s_delay_alu instid0(VALU_DEP_1) | instskip(NEXT) | instid1(VALU_DEP_2)
	v_and_b32_e32 v45, 0xf8, v45
	v_cmp_eq_u64_e32 vcc_lo, 0, v[16:17]
	s_delay_alu instid0(VALU_DEP_2)
	v_and_or_b32 v16, v16, 7, v45
	s_and_b32 s8, s8, vcc_lo
	s_delay_alu instid0(VALU_DEP_1) | instid1(SALU_CYCLE_1)
	v_cndmask_b32_e64 v16, v16, 0, s8
	s_delay_alu instid0(VALU_DEP_1)
	v_or_b32_e32 v63, v16, v5
.LBB4_705:                              ;   in Loop: Header=BB4_323 Depth=3
	s_or_b32 exec_lo, exec_lo, s21
                                        ; implicit-def: $vgpr5
.LBB4_706:                              ;   in Loop: Header=BB4_323 Depth=3
	s_and_not1_saveexec_b32 s8, s20
; %bb.707:                              ;   in Loop: Header=BB4_323 Depth=3
	v_or_b32_e32 v63, 0x7e, v5
; %bb.708:                              ;   in Loop: Header=BB4_323 Depth=3
	s_or_b32 exec_lo, exec_lo, s8
                                        ; implicit-def: $vgpr5
.LBB4_709:                              ;   in Loop: Header=BB4_323 Depth=3
	s_and_not1_saveexec_b32 s8, s19
; %bb.710:                              ;   in Loop: Header=BB4_323 Depth=3
	v_or_b32_e32 v63, 0x7f, v5
; %bb.711:                              ;   in Loop: Header=BB4_323 Depth=3
	s_or_b32 exec_lo, exec_lo, s8
	v_dual_lshrrev_b32 v45, 16, v18 :: v_dual_mov_b32 v5, 0
	v_mov_b32_e32 v44, 0
	s_mov_b32 s8, exec_lo
	s_delay_alu instid0(VALU_DEP_2) | instskip(NEXT) | instid1(VALU_DEP_1)
	v_and_b32_e32 v16, 0xff, v45
	v_cmpx_ne_u16_e32 0, v16
	s_cbranch_execz .LBB4_719
; %bb.712:                              ;   in Loop: Header=BB4_323 Depth=3
	v_bfrev_b32_e32 v44, 1
	s_mov_b32 s19, exec_lo
	v_cmpx_ne_u16_e32 0x80, v16
	s_cbranch_execz .LBB4_718
; %bb.713:                              ;   in Loop: Header=BB4_323 Depth=3
	v_bfe_u32 v73, v18, 16, 7
	v_mov_b32_e32 v44, 0x7f800001
	s_mov_b32 s20, exec_lo
	s_delay_alu instid0(VALU_DEP_2)
	v_cmpx_ne_u32_e32 0x7f, v73
	s_cbranch_execz .LBB4_717
; %bb.714:                              ;   in Loop: Header=BB4_323 Depth=3
	v_dual_mov_b32 v17, v65 :: v_dual_bitop2_b32 v16, 7, v45 bitop3:0x40
	v_lshrrev_b32_e32 v44, 3, v73
	s_mov_b32 s21, exec_lo
	v_cmpx_gt_u32_e32 8, v73
; %bb.715:                              ;   in Loop: Header=BB4_323 Depth=3
	s_delay_alu instid0(VALU_DEP_3) | instskip(NEXT) | instid1(VALU_DEP_1)
	v_clz_i32_u32_e32 v44, v16
	v_min_u32_e32 v44, 32, v44
	s_delay_alu instid0(VALU_DEP_1) | instskip(SKIP_1) | instid1(VALU_DEP_2)
	v_subrev_nc_u32_e32 v73, 28, v44
	v_sub_nc_u32_e32 v44, 29, v44
	v_lshlrev_b64_e32 v[16:17], v73, v[16:17]
	s_delay_alu instid0(VALU_DEP_1)
	v_and_b32_e32 v16, 7, v16
; %bb.716:                              ;   in Loop: Header=BB4_323 Depth=3
	s_or_b32 exec_lo, exec_lo, s21
	s_delay_alu instid0(VALU_DEP_1) | instskip(SKIP_1) | instid1(VALU_DEP_2)
	v_dual_lshlrev_b32 v17, 24, v45 :: v_dual_lshlrev_b32 v16, 20, v16
	v_lshl_add_u32 v44, v44, 23, 0x3c000000
	v_and_b32_e32 v17, 0x80000000, v17
	s_delay_alu instid0(VALU_DEP_1)
	v_or3_b32 v44, v16, v17, v44
.LBB4_717:                              ;   in Loop: Header=BB4_323 Depth=3
	s_or_b32 exec_lo, exec_lo, s20
.LBB4_718:                              ;   in Loop: Header=BB4_323 Depth=3
	s_delay_alu instid0(SALU_CYCLE_1)
	s_or_b32 exec_lo, exec_lo, s19
.LBB4_719:                              ;   in Loop: Header=BB4_323 Depth=3
	s_delay_alu instid0(SALU_CYCLE_1) | instskip(SKIP_2) | instid1(VALU_DEP_1)
	s_or_b32 exec_lo, exec_lo, s8
	v_lshrrev_b32_e32 v16, 16, v4
	s_mov_b32 s8, exec_lo
	v_and_b32_e32 v17, 0xff, v16
	s_delay_alu instid0(VALU_DEP_1)
	v_cmpx_ne_u16_e32 0, v17
	s_cbranch_execz .LBB4_727
; %bb.720:                              ;   in Loop: Header=BB4_323 Depth=3
	v_bfrev_b32_e32 v5, 1
	s_mov_b32 s19, exec_lo
	v_cmpx_ne_u16_e32 0x80, v17
	s_cbranch_execz .LBB4_726
; %bb.721:                              ;   in Loop: Header=BB4_323 Depth=3
	v_bfe_u32 v45, v4, 16, 7
	v_mov_b32_e32 v5, 0x7f800001
	s_mov_b32 s20, exec_lo
	s_delay_alu instid0(VALU_DEP_2)
	v_cmpx_ne_u32_e32 0x7f, v45
	s_cbranch_execz .LBB4_725
; %bb.722:                              ;   in Loop: Header=BB4_323 Depth=3
	v_dual_mov_b32 v17, v65 :: v_dual_bitop2_b32 v16, 7, v16 bitop3:0x40
	v_lshrrev_b32_e32 v5, 3, v45
	s_mov_b32 s21, exec_lo
	v_cmpx_gt_u32_e32 8, v45
; %bb.723:                              ;   in Loop: Header=BB4_323 Depth=3
	s_delay_alu instid0(VALU_DEP_3) | instskip(NEXT) | instid1(VALU_DEP_1)
	v_clz_i32_u32_e32 v5, v16
	v_min_u32_e32 v5, 32, v5
	s_delay_alu instid0(VALU_DEP_1) | instskip(NEXT) | instid1(VALU_DEP_1)
	v_subrev_nc_u32_e32 v45, 28, v5
	v_lshlrev_b64_e32 v[16:17], v45, v[16:17]
	s_delay_alu instid0(VALU_DEP_1)
	v_dual_sub_nc_u32 v5, 29, v5 :: v_dual_bitop2_b32 v16, 7, v16 bitop3:0x40
; %bb.724:                              ;   in Loop: Header=BB4_323 Depth=3
	s_or_b32 exec_lo, exec_lo, s21
	v_lshlrev_b32_e32 v17, 8, v4
	s_delay_alu instid0(VALU_DEP_2) | instskip(NEXT) | instid1(VALU_DEP_3)
	v_lshlrev_b32_e32 v16, 20, v16
	v_lshl_add_u32 v5, v5, 23, 0x3c000000
	s_delay_alu instid0(VALU_DEP_3) | instskip(NEXT) | instid1(VALU_DEP_1)
	v_and_b32_e32 v17, 0x80000000, v17
	v_or3_b32 v5, v16, v17, v5
.LBB4_725:                              ;   in Loop: Header=BB4_323 Depth=3
	s_or_b32 exec_lo, exec_lo, s20
.LBB4_726:                              ;   in Loop: Header=BB4_323 Depth=3
	s_delay_alu instid0(SALU_CYCLE_1)
	s_or_b32 exec_lo, exec_lo, s19
.LBB4_727:                              ;   in Loop: Header=BB4_323 Depth=3
	s_delay_alu instid0(SALU_CYCLE_1) | instskip(NEXT) | instid1(VALU_DEP_1)
	s_or_b32 exec_lo, exec_lo, s8
	v_dual_add_f32 v16, v44, v5 :: v_dual_mov_b32 v45, v65
	s_delay_alu instid0(VALU_DEP_1) | instskip(SKIP_1) | instid1(VALU_DEP_2)
	v_and_b32_e32 v44, 0x7f800000, v16
	v_lshrrev_b32_e32 v5, 24, v16
	v_cmp_ne_u64_e32 vcc_lo, 0x7f800000, v[44:45]
                                        ; implicit-def: $vgpr44
	s_and_saveexec_b32 s8, vcc_lo
	s_delay_alu instid0(SALU_CYCLE_1)
	s_xor_b32 s19, exec_lo, s8
	s_cbranch_execz .LBB4_741
; %bb.728:                              ;   in Loop: Header=BB4_323 Depth=3
	v_and_b32_e32 v44, 0x7fffffff, v16
	v_mov_b32_e32 v45, v65
	v_and_b32_e32 v5, 0x80, v5
	s_delay_alu instid0(VALU_DEP_2) | instskip(SKIP_1) | instid1(SALU_CYCLE_1)
	v_cmp_gt_u64_e32 vcc_lo, 0x43e00001, v[44:45]
                                        ; implicit-def: $vgpr44
	s_and_saveexec_b32 s8, vcc_lo
	s_xor_b32 s20, exec_lo, s8
	s_cbranch_execz .LBB4_738
; %bb.729:                              ;   in Loop: Header=BB4_323 Depth=3
	v_mov_b32_e32 v44, 0
	s_mov_b32 s21, exec_lo
	v_cmpx_ne_u32_e32 0, v16
	s_cbranch_execz .LBB4_737
; %bb.730:                              ;   in Loop: Header=BB4_323 Depth=3
	v_bfe_u32 v73, v16, 23, 8
	v_and_b32_e32 v44, 0x7fffff, v16
	s_mov_b32 s22, exec_lo
	s_delay_alu instid0(VALU_DEP_2) | instskip(NEXT) | instid1(VALU_DEP_2)
	v_cmp_gt_u32_e32 vcc_lo, 0x7a, v73
	v_or_b32_e32 v45, 0x800000, v44
	v_sub_nc_u32_e32 v17, 0x79, v73
	s_delay_alu instid0(VALU_DEP_1) | instskip(SKIP_1) | instid1(VALU_DEP_2)
	v_cndmask_b32_e32 v17, 0, v17, vcc_lo
	v_cmp_eq_u32_e32 vcc_lo, 0, v73
	v_cndmask_b32_e64 v74, v17, 0x78, vcc_lo
	v_cndmask_b32_e32 v44, v45, v44, vcc_lo
	s_delay_alu instid0(VALU_DEP_2) | instskip(SKIP_1) | instid1(VALU_DEP_2)
	v_dual_mov_b32 v45, v65 :: v_dual_add_nc_u32 v75, 19, v74
	v_add_nc_u32_e32 v16, 20, v74
	v_lshlrev_b64_e64 v[76:77], v75, 1
	s_delay_alu instid0(VALU_DEP_2) | instskip(NEXT) | instid1(VALU_DEP_1)
	v_lshlrev_b64_e64 v[16:17], v16, -1
	v_bfi_b32 v79, v17, 0, 0
	s_delay_alu instid0(VALU_DEP_2) | instskip(SKIP_1) | instid1(VALU_DEP_1)
	v_bfi_b32 v78, v16, 0, v44
	v_lshrrev_b64 v[16:17], v74, v[44:45]
	v_mov_b64_e32 v[44:45], v[16:17]
	s_delay_alu instid0(VALU_DEP_3)
	v_cmpx_eq_u64_e64 v[78:79], v[76:77]
; %bb.731:                              ;   in Loop: Header=BB4_323 Depth=3
	v_bfe_u32 v44, v16, 20, 1
	v_mov_b32_e32 v45, v65
	s_delay_alu instid0(VALU_DEP_1) | instskip(NEXT) | instid1(VALU_DEP_1)
	v_add_nc_u64_e32 v[44:45], v[16:17], v[44:45]
	v_add_nc_u64_e32 v[44:45], -1, v[44:45]
; %bb.732:                              ;   in Loop: Header=BB4_323 Depth=3
	s_or_b32 exec_lo, exec_lo, s22
	v_add_nc_u32_e32 v17, 0xffffff81, v73
	v_lshrrev_b32_e32 v45, 23, v16
	s_mov_b32 s8, exec_lo
	s_delay_alu instid0(VALU_DEP_2) | instskip(NEXT) | instid1(VALU_DEP_1)
	v_cndmask_b32_e64 v17, v17, 0xffffff82, vcc_lo
	v_add3_u32 v45, v74, v17, v45
	v_and_b32_e32 v17, 0xfffff, v44
                                        ; implicit-def: $vgpr44
	s_delay_alu instid0(VALU_DEP_1) | instskip(SKIP_1) | instid1(VALU_DEP_2)
	v_dual_add_nc_u32 v73, 6, v45 :: v_dual_add_nc_u32 v16, v17, v16
	v_mov_b32_e32 v17, v65
	v_cmpx_ne_u32_e32 0, v73
	s_xor_b32 s8, exec_lo, s8
; %bb.733:                              ;   in Loop: Header=BB4_323 Depth=3
	s_delay_alu instid0(VALU_DEP_2) | instskip(SKIP_2) | instid1(VALU_DEP_2)
	v_cmp_lt_u64_e32 vcc_lo, 0xffffff, v[16:17]
	v_add_nc_u32_e32 v44, 7, v45
	v_cndmask_b32_e64 v45, 0, 1, vcc_lo
	v_cndmask_b32_e32 v44, v73, v44, vcc_lo
	s_delay_alu instid0(VALU_DEP_2)
	v_lshrrev_b64 v[16:17], v45, v[16:17]
; %bb.734:                              ;   in Loop: Header=BB4_323 Depth=3
	s_and_not1_saveexec_b32 s8, s8
; %bb.735:                              ;   in Loop: Header=BB4_323 Depth=3
	s_delay_alu instid0(VALU_DEP_1)
	v_bfe_u32 v44, v16, 23, 1
; %bb.736:                              ;   in Loop: Header=BB4_323 Depth=3
	s_or_b32 exec_lo, exec_lo, s8
	s_delay_alu instid0(VALU_DEP_2) | instskip(NEXT) | instid1(VALU_DEP_2)
	v_lshrrev_b64 v[16:17], 20, v[16:17]
	v_cmp_gt_i32_e32 vcc_lo, 16, v44
	v_min_i32_e32 v45, 15, v44
	v_cmp_eq_u32_e64 s8, 0, v44
	s_delay_alu instid0(VALU_DEP_4) | instskip(NEXT) | instid1(VALU_DEP_3)
	v_cndmask_b32_e32 v17, 0, v17, vcc_lo
	v_dual_cndmask_b32 v16, 7, v16 :: v_dual_lshlrev_b32 v45, 3, v45
	s_delay_alu instid0(VALU_DEP_1) | instskip(NEXT) | instid1(VALU_DEP_2)
	v_and_b32_e32 v45, 0xf8, v45
	v_cmp_eq_u64_e32 vcc_lo, 0, v[16:17]
	s_delay_alu instid0(VALU_DEP_2)
	v_and_or_b32 v16, v16, 7, v45
	s_and_b32 s8, s8, vcc_lo
	s_delay_alu instid0(VALU_DEP_1) | instid1(SALU_CYCLE_1)
	v_cndmask_b32_e64 v16, v16, 0, s8
	s_delay_alu instid0(VALU_DEP_1)
	v_or_b32_e32 v44, v16, v5
.LBB4_737:                              ;   in Loop: Header=BB4_323 Depth=3
	s_or_b32 exec_lo, exec_lo, s21
                                        ; implicit-def: $vgpr5
.LBB4_738:                              ;   in Loop: Header=BB4_323 Depth=3
	s_and_not1_saveexec_b32 s8, s20
; %bb.739:                              ;   in Loop: Header=BB4_323 Depth=3
	v_or_b32_e32 v44, 0x7e, v5
; %bb.740:                              ;   in Loop: Header=BB4_323 Depth=3
	s_or_b32 exec_lo, exec_lo, s8
                                        ; implicit-def: $vgpr5
.LBB4_741:                              ;   in Loop: Header=BB4_323 Depth=3
	s_and_not1_saveexec_b32 s8, s19
; %bb.742:                              ;   in Loop: Header=BB4_323 Depth=3
	v_or_b32_e32 v44, 0x7f, v5
; %bb.743:                              ;   in Loop: Header=BB4_323 Depth=3
	s_or_b32 exec_lo, exec_lo, s8
	v_and_b32_e32 v16, 0xff000000, v18
	v_dual_mov_b32 v17, v65 :: v_dual_mov_b32 v5, 0
	s_delay_alu instid0(VALU_DEP_1)
	v_cmp_ne_u64_e32 vcc_lo, 0, v[16:17]
	v_mov_b32_e32 v16, 0
	s_and_saveexec_b32 s8, vcc_lo
	s_cbranch_execz .LBB4_751
; %bb.744:                              ;   in Loop: Header=BB4_323 Depth=3
	v_lshrrev_b32_e32 v45, 24, v18
	v_bfrev_b32_e32 v16, 1
	s_mov_b32 s19, exec_lo
	s_delay_alu instid0(VALU_DEP_2)
	v_cmpx_ne_u32_e32 0x80, v45
	s_cbranch_execz .LBB4_750
; %bb.745:                              ;   in Loop: Header=BB4_323 Depth=3
	v_bfe_u32 v73, v18, 24, 7
	v_mov_b32_e32 v16, 0x7f800001
	s_mov_b32 s20, exec_lo
	s_delay_alu instid0(VALU_DEP_2)
	v_cmpx_ne_u32_e32 0x7f, v73
	s_cbranch_execz .LBB4_749
; %bb.746:                              ;   in Loop: Header=BB4_323 Depth=3
	v_dual_mov_b32 v17, v65 :: v_dual_bitop2_b32 v16, 7, v45 bitop3:0x40
	v_lshrrev_b32_e32 v18, 3, v73
	s_mov_b32 s21, exec_lo
	v_cmpx_gt_u32_e32 8, v73
; %bb.747:                              ;   in Loop: Header=BB4_323 Depth=3
	s_delay_alu instid0(VALU_DEP_3) | instskip(NEXT) | instid1(VALU_DEP_1)
	v_clz_i32_u32_e32 v18, v16
	v_min_u32_e32 v18, 32, v18
	s_delay_alu instid0(VALU_DEP_1) | instskip(NEXT) | instid1(VALU_DEP_1)
	v_subrev_nc_u32_e32 v73, 28, v18
	v_lshlrev_b64_e32 v[16:17], v73, v[16:17]
	s_delay_alu instid0(VALU_DEP_1)
	v_dual_sub_nc_u32 v18, 29, v18 :: v_dual_bitop2_b32 v16, 7, v16 bitop3:0x40
; %bb.748:                              ;   in Loop: Header=BB4_323 Depth=3
	s_or_b32 exec_lo, exec_lo, s21
	s_delay_alu instid0(VALU_DEP_1) | instskip(NEXT) | instid1(VALU_DEP_2)
	v_dual_lshlrev_b32 v17, 24, v45 :: v_dual_lshlrev_b32 v16, 20, v16
	v_lshl_add_u32 v18, v18, 23, 0x3c000000
	s_delay_alu instid0(VALU_DEP_2) | instskip(NEXT) | instid1(VALU_DEP_1)
	v_and_b32_e32 v17, 0x80000000, v17
	v_or3_b32 v16, v16, v17, v18
.LBB4_749:                              ;   in Loop: Header=BB4_323 Depth=3
	s_or_b32 exec_lo, exec_lo, s20
.LBB4_750:                              ;   in Loop: Header=BB4_323 Depth=3
	s_delay_alu instid0(SALU_CYCLE_1)
	s_or_b32 exec_lo, exec_lo, s19
.LBB4_751:                              ;   in Loop: Header=BB4_323 Depth=3
	s_delay_alu instid0(SALU_CYCLE_1) | instskip(NEXT) | instid1(SALU_CYCLE_1)
	s_or_b32 exec_lo, exec_lo, s8
	s_mov_b32 s8, exec_lo
	v_cmpx_lt_u32_e32 0xffffff, v4
	s_cbranch_execz .LBB4_759
; %bb.752:                              ;   in Loop: Header=BB4_323 Depth=3
	v_lshrrev_b32_e32 v17, 24, v4
	v_bfrev_b32_e32 v5, 1
	s_mov_b32 s19, exec_lo
	s_delay_alu instid0(VALU_DEP_2)
	v_cmpx_ne_u32_e32 0x80, v17
	s_cbranch_execz .LBB4_758
; %bb.753:                              ;   in Loop: Header=BB4_323 Depth=3
	v_bfe_u32 v45, v4, 24, 7
	v_mov_b32_e32 v5, 0x7f800001
	s_mov_b32 s20, exec_lo
	s_delay_alu instid0(VALU_DEP_2)
	v_cmpx_ne_u32_e32 0x7f, v45
	s_cbranch_execz .LBB4_757
; %bb.754:                              ;   in Loop: Header=BB4_323 Depth=3
	v_dual_mov_b32 v5, v65 :: v_dual_bitop2_b32 v4, 7, v17 bitop3:0x40
	v_lshrrev_b32_e32 v18, 3, v45
	s_mov_b32 s21, exec_lo
	v_cmpx_gt_u32_e32 8, v45
; %bb.755:                              ;   in Loop: Header=BB4_323 Depth=3
	s_delay_alu instid0(VALU_DEP_3) | instskip(NEXT) | instid1(VALU_DEP_1)
	v_clz_i32_u32_e32 v18, v4
	v_min_u32_e32 v18, 32, v18
	s_delay_alu instid0(VALU_DEP_1) | instskip(NEXT) | instid1(VALU_DEP_1)
	v_subrev_nc_u32_e32 v45, 28, v18
	v_lshlrev_b64_e32 v[4:5], v45, v[4:5]
	s_delay_alu instid0(VALU_DEP_1)
	v_dual_sub_nc_u32 v18, 29, v18 :: v_dual_bitop2_b32 v4, 7, v4 bitop3:0x40
; %bb.756:                              ;   in Loop: Header=BB4_323 Depth=3
	s_or_b32 exec_lo, exec_lo, s21
	s_delay_alu instid0(VALU_DEP_1) | instskip(NEXT) | instid1(VALU_DEP_2)
	v_dual_lshlrev_b32 v5, 24, v17 :: v_dual_lshlrev_b32 v4, 20, v4
	v_lshl_add_u32 v17, v18, 23, 0x3c000000
	s_delay_alu instid0(VALU_DEP_2) | instskip(NEXT) | instid1(VALU_DEP_1)
	v_and_b32_e32 v5, 0x80000000, v5
	v_or3_b32 v5, v4, v5, v17
.LBB4_757:                              ;   in Loop: Header=BB4_323 Depth=3
	s_or_b32 exec_lo, exec_lo, s20
.LBB4_758:                              ;   in Loop: Header=BB4_323 Depth=3
	s_delay_alu instid0(SALU_CYCLE_1)
	s_or_b32 exec_lo, exec_lo, s19
.LBB4_759:                              ;   in Loop: Header=BB4_323 Depth=3
	s_delay_alu instid0(SALU_CYCLE_1) | instskip(NEXT) | instid1(VALU_DEP_1)
	s_or_b32 exec_lo, exec_lo, s8
	v_dual_add_f32 v5, v16, v5 :: v_dual_mov_b32 v17, v65
                                        ; implicit-def: $vgpr4
	s_delay_alu instid0(VALU_DEP_1) | instskip(NEXT) | instid1(VALU_DEP_1)
	v_and_b32_e32 v16, 0x7f800000, v5
	v_cmp_ne_u64_e32 vcc_lo, 0x7f800000, v[16:17]
	v_lshrrev_b32_e32 v16, 24, v5
	s_and_saveexec_b32 s8, vcc_lo
	s_delay_alu instid0(SALU_CYCLE_1)
	s_xor_b32 s19, exec_lo, s8
	s_cbranch_execz .LBB4_773
; %bb.760:                              ;   in Loop: Header=BB4_323 Depth=3
	v_and_b32_e32 v74, 0x7fffffff, v5
	v_mov_b32_e32 v75, v65
	v_and_b32_e32 v18, 0x80, v16
                                        ; implicit-def: $vgpr4
	s_mov_b32 s8, exec_lo
	s_delay_alu instid0(VALU_DEP_2)
	v_cmpx_gt_u64_e32 0x43e00001, v[74:75]
	s_xor_b32 s20, exec_lo, s8
	s_cbranch_execz .LBB4_770
; %bb.761:                              ;   in Loop: Header=BB4_323 Depth=3
	v_mov_b32_e32 v4, 0
	s_mov_b32 s21, exec_lo
	v_cmpx_ne_u32_e32 0, v5
	s_cbranch_execz .LBB4_769
; %bb.762:                              ;   in Loop: Header=BB4_323 Depth=3
	v_bfe_u32 v45, v5, 23, 8
	v_and_b32_e32 v16, 0x7fffff, v5
	s_mov_b32 s22, exec_lo
	s_delay_alu instid0(VALU_DEP_2) | instskip(SKIP_1) | instid1(VALU_DEP_3)
	v_sub_nc_u32_e32 v4, 0x79, v45
	v_cmp_gt_u32_e32 vcc_lo, 0x7a, v45
	v_or_b32_e32 v17, 0x800000, v16
	s_delay_alu instid0(VALU_DEP_3) | instskip(SKIP_1) | instid1(VALU_DEP_2)
	v_cndmask_b32_e32 v4, 0, v4, vcc_lo
	v_cmp_eq_u32_e32 vcc_lo, 0, v45
	v_cndmask_b32_e64 v73, v4, 0x78, vcc_lo
	s_delay_alu instid0(VALU_DEP_4) | instskip(NEXT) | instid1(VALU_DEP_2)
	v_cndmask_b32_e32 v16, v17, v16, vcc_lo
	v_dual_mov_b32 v17, v65 :: v_dual_add_nc_u32 v4, 20, v73
	v_add_nc_u32_e32 v74, 19, v73
	s_delay_alu instid0(VALU_DEP_2) | instskip(NEXT) | instid1(VALU_DEP_2)
	v_lshlrev_b64_e64 v[4:5], v4, -1
	v_lshlrev_b64_e64 v[74:75], v74, 1
	s_delay_alu instid0(VALU_DEP_2) | instskip(NEXT) | instid1(VALU_DEP_3)
	v_bfi_b32 v77, v5, 0, 0
	v_bfi_b32 v76, v4, 0, v16
	v_lshrrev_b64 v[4:5], v73, v[16:17]
	s_delay_alu instid0(VALU_DEP_1) | instskip(NEXT) | instid1(VALU_DEP_3)
	v_mov_b64_e32 v[16:17], v[4:5]
	v_cmpx_eq_u64_e64 v[76:77], v[74:75]
; %bb.763:                              ;   in Loop: Header=BB4_323 Depth=3
	v_bfe_u32 v16, v4, 20, 1
	v_mov_b32_e32 v17, v65
	s_delay_alu instid0(VALU_DEP_1) | instskip(NEXT) | instid1(VALU_DEP_1)
	v_add_nc_u64_e32 v[16:17], v[4:5], v[16:17]
	v_add_nc_u64_e32 v[16:17], -1, v[16:17]
; %bb.764:                              ;   in Loop: Header=BB4_323 Depth=3
	s_or_b32 exec_lo, exec_lo, s22
	v_add_nc_u32_e32 v5, 0xffffff81, v45
	v_lshrrev_b32_e32 v17, 23, v4
	s_mov_b32 s8, exec_lo
	s_delay_alu instid0(VALU_DEP_2) | instskip(NEXT) | instid1(VALU_DEP_1)
	v_cndmask_b32_e64 v5, v5, 0xffffff82, vcc_lo
	v_add3_u32 v17, v73, v5, v17
	v_and_b32_e32 v5, 0xfffff, v16
                                        ; implicit-def: $vgpr16
	s_delay_alu instid0(VALU_DEP_1) | instskip(SKIP_1) | instid1(VALU_DEP_2)
	v_dual_add_nc_u32 v45, 6, v17 :: v_dual_add_nc_u32 v4, v5, v4
	v_mov_b32_e32 v5, v65
	v_cmpx_ne_u32_e32 0, v45
	s_xor_b32 s8, exec_lo, s8
; %bb.765:                              ;   in Loop: Header=BB4_323 Depth=3
	s_delay_alu instid0(VALU_DEP_2) | instskip(SKIP_2) | instid1(VALU_DEP_2)
	v_cmp_lt_u64_e32 vcc_lo, 0xffffff, v[4:5]
	v_add_nc_u32_e32 v16, 7, v17
	v_cndmask_b32_e64 v17, 0, 1, vcc_lo
	v_cndmask_b32_e32 v16, v45, v16, vcc_lo
	s_delay_alu instid0(VALU_DEP_2)
	v_lshrrev_b64 v[4:5], v17, v[4:5]
; %bb.766:                              ;   in Loop: Header=BB4_323 Depth=3
	s_and_not1_saveexec_b32 s8, s8
; %bb.767:                              ;   in Loop: Header=BB4_323 Depth=3
	s_delay_alu instid0(VALU_DEP_1)
	v_bfe_u32 v16, v4, 23, 1
; %bb.768:                              ;   in Loop: Header=BB4_323 Depth=3
	s_or_b32 exec_lo, exec_lo, s8
	s_delay_alu instid0(VALU_DEP_2) | instskip(NEXT) | instid1(VALU_DEP_2)
	v_lshrrev_b64 v[4:5], 20, v[4:5]
	v_cmp_gt_i32_e32 vcc_lo, 16, v16
	v_min_i32_e32 v17, 15, v16
	v_cmp_eq_u32_e64 s8, 0, v16
	s_delay_alu instid0(VALU_DEP_4) | instskip(NEXT) | instid1(VALU_DEP_3)
	v_cndmask_b32_e32 v5, 0, v5, vcc_lo
	v_dual_cndmask_b32 v4, 7, v4 :: v_dual_lshlrev_b32 v17, 3, v17
	s_delay_alu instid0(VALU_DEP_1) | instskip(NEXT) | instid1(VALU_DEP_2)
	v_and_b32_e32 v17, 0xf8, v17
	v_cmp_eq_u64_e32 vcc_lo, 0, v[4:5]
	s_delay_alu instid0(VALU_DEP_2)
	v_and_or_b32 v4, v4, 7, v17
	s_and_b32 s8, s8, vcc_lo
	s_delay_alu instid0(VALU_DEP_1) | instid1(SALU_CYCLE_1)
	v_cndmask_b32_e64 v4, v4, 0, s8
	s_delay_alu instid0(VALU_DEP_1)
	v_or_b32_e32 v4, v4, v18
.LBB4_769:                              ;   in Loop: Header=BB4_323 Depth=3
	s_or_b32 exec_lo, exec_lo, s21
                                        ; implicit-def: $vgpr18
.LBB4_770:                              ;   in Loop: Header=BB4_323 Depth=3
	s_and_not1_saveexec_b32 s8, s20
; %bb.771:                              ;   in Loop: Header=BB4_323 Depth=3
	v_or_b32_e32 v4, 0x7e, v18
; %bb.772:                              ;   in Loop: Header=BB4_323 Depth=3
	s_or_b32 exec_lo, exec_lo, s8
                                        ; implicit-def: $vgpr16
.LBB4_773:                              ;   in Loop: Header=BB4_323 Depth=3
	s_and_not1_saveexec_b32 s8, s19
	s_cbranch_execz .LBB4_322
; %bb.774:                              ;   in Loop: Header=BB4_323 Depth=3
	v_or_b32_e32 v4, 0x7f, v16
	s_branch .LBB4_322
.LBB4_775:                              ;   in Loop: Header=BB4_279 Depth=2
	s_or_b32 exec_lo, exec_lo, s18
	s_delay_alu instid0(SALU_CYCLE_1)
	s_or_b32 exec_lo, exec_lo, s17
	s_and_saveexec_b32 s8, s3
	s_cbranch_execz .LBB4_316
.LBB4_776:                              ;   in Loop: Header=BB4_279 Depth=2
	s_and_saveexec_b32 s17, s4
	s_delay_alu instid0(SALU_CYCLE_1)
	s_xor_b32 s17, exec_lo, s17
	s_cbranch_execz .LBB4_791
; %bb.777:                              ;   in Loop: Header=BB4_279 Depth=2
	s_and_saveexec_b32 s18, s5
	s_cbranch_execz .LBB4_790
; %bb.778:                              ;   in Loop: Header=BB4_279 Depth=2
	s_mov_b32 s20, exec_lo
	s_mov_b32 s19, exec_lo
	v_mbcnt_lo_u32_b32 v2, s20, 0
	global_wb scope:SCOPE_DEV
	s_wait_storecnt 0x0
	s_wait_loadcnt_dscnt 0x0
	global_inv scope:SCOPE_DEV
	v_cmpx_eq_u32_e32 0, v2
	s_cbranch_execz .LBB4_780
; %bb.779:                              ;   in Loop: Header=BB4_279 Depth=2
	s_bcnt1_i32_b32 s20, s20
	s_delay_alu instid0(SALU_CYCLE_1)
	v_dual_mov_b32 v5, v65 :: v_dual_mov_b32 v4, s20
	s_wait_loadcnt 0x0
	ds_add_u64 v0, v[4:5]
	s_trap 2
.LBB4_780:                              ;   in Loop: Header=BB4_279 Depth=2
	s_or_b32 exec_lo, exec_lo, s19
	s_trap 2
	ds_load_b64 v[4:5], v0
	s_wait_dscnt 0x0
	v_add_nc_u64_e32 v[52:53], v[52:53], v[82:83]
	s_mov_b32 s19, exec_lo
	s_delay_alu instid0(VALU_DEP_1)
	v_cmpx_lt_u64_e64 v[4:5], v[52:53]
	s_cbranch_execz .LBB4_789
; %bb.781:                              ;   in Loop: Header=BB4_279 Depth=2
	s_mov_b32 s20, 0
	s_mov_b32 s23, 0
                                        ; implicit-def: $sgpr21
                                        ; implicit-def: $sgpr22
	s_branch .LBB4_783
.LBB4_782:                              ;   in Loop: Header=BB4_783 Depth=3
	s_or_b32 exec_lo, exec_lo, s25
	s_delay_alu instid0(SALU_CYCLE_1) | instskip(NEXT) | instid1(SALU_CYCLE_1)
	s_and_b32 s24, exec_lo, s26
	s_or_b32 s20, s24, s20
	s_and_not1_b32 s21, s21, exec_lo
	s_and_b32 s24, s22, exec_lo
	s_delay_alu instid0(SALU_CYCLE_1)
	s_or_b32 s21, s21, s24
	s_and_not1_b32 exec_lo, exec_lo, s20
	s_cbranch_execz .LBB4_787
.LBB4_783:                              ;   Parent Loop BB4_42 Depth=1
                                        ;     Parent Loop BB4_279 Depth=2
                                        ; =>    This Inner Loop Header: Depth=3
	s_add_co_i32 s23, s23, 1
	s_delay_alu instid0(SALU_CYCLE_1) | instskip(SKIP_1) | instid1(SALU_CYCLE_1)
	s_cmp_lg_u32 s23, 0x2710
	s_cselect_b32 s24, -1, 0
	s_and_b32 vcc_lo, exec_lo, s24
	s_cbranch_vccz .LBB4_785
; %bb.784:                              ;   in Loop: Header=BB4_783 Depth=3
	s_mov_b32 s26, -1
	s_or_b32 s22, s22, exec_lo
	s_and_saveexec_b32 s25, s24
	s_cbranch_execz .LBB4_782
	s_branch .LBB4_786
.LBB4_785:                              ;   in Loop: Header=BB4_783 Depth=3
	s_trap 2
	ds_load_b64 v[4:5], v0
	s_and_not1_b32 s24, s24, exec_lo
	s_mov_b32 s23, 0
	s_wait_loadcnt_dscnt 0x0
	flat_load_b32 v2, v[4:5] scope:SCOPE_SYS
	s_wait_loadcnt_dscnt 0x0
	global_inv scope:SCOPE_SYS
	v_cmp_eq_u32_e32 vcc_lo, 0, v2
	s_and_b32 s25, vcc_lo, exec_lo
	s_delay_alu instid0(SALU_CYCLE_1)
	s_or_b32 s24, s24, s25
	s_mov_b32 s26, -1
	s_or_b32 s22, s22, exec_lo
	s_and_saveexec_b32 s25, s24
	s_cbranch_execz .LBB4_782
.LBB4_786:                              ;   in Loop: Header=BB4_783 Depth=3
	s_sleep 1
	s_trap 2
	ds_load_b64 v[4:5], v0
	s_wait_dscnt 0x0
	s_and_not1_b32 s22, s22, exec_lo
	v_cmp_ge_u64_e32 vcc_lo, v[4:5], v[52:53]
	s_or_not1_b32 s26, vcc_lo, exec_lo
	s_branch .LBB4_782
.LBB4_787:                              ;   in Loop: Header=BB4_279 Depth=2
	s_or_b32 exec_lo, exec_lo, s20
	s_and_saveexec_b32 s20, s21
	s_delay_alu instid0(SALU_CYCLE_1)
	s_xor_b32 s20, exec_lo, s20
	s_cbranch_execz .LBB4_789
; %bb.788:                              ;   in Loop: Header=BB4_279 Depth=2
	ds_store_b32 v0, v1
	s_trap 2
.LBB4_789:                              ;   in Loop: Header=BB4_279 Depth=2
	s_or_b32 exec_lo, exec_lo, s19
	;;#ASMSTART
	s_wakeup
	;;#ASMEND
.LBB4_790:                              ;   in Loop: Header=BB4_279 Depth=2
	s_or_b32 exec_lo, exec_lo, s18
.LBB4_791:                              ;   in Loop: Header=BB4_279 Depth=2
	s_and_not1_saveexec_b32 s17, s17
	s_cbranch_execz .LBB4_793
; %bb.792:                              ;   in Loop: Header=BB4_279 Depth=2
	global_wb scope:SCOPE_DEV
	s_wait_storecnt 0x0
	s_wait_loadcnt_dscnt 0x0
	global_inv scope:SCOPE_DEV
	s_barrier_signal -1
	s_barrier_wait -1
.LBB4_793:                              ;   in Loop: Header=BB4_279 Depth=2
	s_or_b32 exec_lo, exec_lo, s17
	s_delay_alu instid0(SALU_CYCLE_1)
	s_or_b32 exec_lo, exec_lo, s8
	s_and_saveexec_b32 s8, s6
	s_cbranch_execnz .LBB4_317
	s_branch .LBB4_318
.LBB4_794:                              ;   in Loop: Header=BB4_42 Depth=1
	s_delay_alu instid0(VALU_DEP_1)
	v_mov_b64_e32 v[16:17], v[114:115]
	s_and_saveexec_b32 s8, s7
	s_cbranch_execnz .LBB4_797
; %bb.795:                              ;   in Loop: Header=BB4_42 Depth=1
	s_or_b32 exec_lo, exec_lo, s8
	s_and_saveexec_b32 s7, s3
	s_cbranch_execnz .LBB4_1270
.LBB4_796:                              ;   in Loop: Header=BB4_42 Depth=1
	s_or_b32 exec_lo, exec_lo, s7
	s_and_saveexec_b32 s7, s6
	s_cbranch_execz .LBB4_41
	s_branch .LBB4_1288
.LBB4_797:                              ;   in Loop: Header=BB4_42 Depth=1
	flat_load_b32 v4, v[22:23]
	v_add_nc_u64_e32 v[2:3], v[10:11], v[112:113]
	v_dual_mov_b32 v116, v0 :: v_dual_bitop2_b32 v5, 7, v34 bitop3:0x40
	s_mov_b32 s16, 0
	v_add_nc_u32_e32 v42, 1, v34
	s_wait_loadcnt_dscnt 0x0
	s_delay_alu instid0(VALU_DEP_3) | instskip(SKIP_1) | instid1(VALU_DEP_2)
	v_mad_nc_u64_u32 v[2:3], v68, v4, v[2:3]
	v_ashrrev_i32_e32 v18, 31, v4
	v_mad_u32 v3, v69, v4, v3
	v_mul_lo_u32 v4, v5, s13
	s_delay_alu instid0(VALU_DEP_2) | instskip(NEXT) | instid1(VALU_DEP_2)
	v_mad_u32 v3, v68, v18, v3
	v_ashrrev_i32_e32 v5, 31, v4
	v_add_nc_u64_e32 v[18:19], v[8:9], v[112:113]
	s_delay_alu instid0(VALU_DEP_2) | instskip(NEXT) | instid1(VALU_DEP_4)
	v_lshl_add_u64 v[114:115], v[4:5], 4, v[32:33]
	v_add_nc_u64_e32 v[112:113], v[2:3], v[84:85]
	s_branch .LBB4_799
.LBB4_798:                              ;   in Loop: Header=BB4_799 Depth=2
	v_dual_sub_nc_u32 v58, v58, v86 :: v_dual_add_nc_u32 v116, v116, v20
	v_add_nc_u64_e32 v[112:113], v[112:113], v[86:87]
	s_wait_xcnt 0x0
	v_add_nc_u64_e32 v[18:19], v[18:19], v[86:87]
	s_delay_alu instid0(VALU_DEP_3) | instskip(SKIP_1) | instid1(SALU_CYCLE_1)
	v_cmp_gt_i32_e32 vcc_lo, 1, v58
	s_or_b32 s16, vcc_lo, s16
	s_and_not1_b32 exec_lo, exec_lo, s16
	s_cbranch_execz .LBB4_1269
.LBB4_799:                              ;   Parent Loop BB4_42 Depth=1
                                        ; =>  This Loop Header: Depth=2
                                        ;       Child Loop BB4_807 Depth 3
	s_delay_alu instid0(VALU_DEP_1)
	v_dual_mov_b32 v3, v113 :: v_dual_bitop2_b32 v2, -4, v112 bitop3:0x40
	v_min_u32_e32 v4, 8, v58
	v_dual_mov_b32 v43, 0 :: v_dual_bitop2_b32 v5, 3, v112 bitop3:0x40
	v_mov_b32_e32 v45, 0
	global_load_b32 v40, v[2:3], off th:TH_LOAD_NT
	s_mov_b32 s7, exec_lo
	v_add_nc_u32_e32 v64, v5, v4
	s_wait_xcnt 0x0
	s_delay_alu instid0(VALU_DEP_1)
	v_cmpx_lt_u32_e32 4, v64
	s_cbranch_execz .LBB4_801
; %bb.800:                              ;   in Loop: Header=BB4_799 Depth=2
	global_load_b32 v45, v[2:3], off offset:4 th:TH_LOAD_NT
.LBB4_801:                              ;   in Loop: Header=BB4_799 Depth=2
	s_wait_xcnt 0x0
	s_or_b32 exec_lo, exec_lo, s7
	s_delay_alu instid0(SALU_CYCLE_1)
	s_mov_b32 s7, exec_lo
	v_cmpx_lt_u64_e32 8, v[64:65]
	s_cbranch_execz .LBB4_803
; %bb.802:                              ;   in Loop: Header=BB4_799 Depth=2
	global_load_b32 v43, v[2:3], off offset:8 th:TH_LOAD_NT
.LBB4_803:                              ;   in Loop: Header=BB4_799 Depth=2
	s_wait_xcnt 0x0
	s_or_b32 exec_lo, exec_lo, s7
	v_mov_b32_e32 v117, v65
	v_cmp_eq_u32_e32 vcc_lo, 0, v21
	v_mov_b32_e32 v21, 1
	s_delay_alu instid0(VALU_DEP_3)
	v_lshl_add_u64 v[118:119], v[116:117], 4, v[114:115]
	global_load_b128 v[2:5], v[118:119], off th:TH_LOAD_NT
	s_wait_xcnt 0x0
	s_and_saveexec_b32 s17, vcc_lo
	s_cbranch_execz .LBB4_815
; %bb.804:                              ;   in Loop: Header=BB4_799 Depth=2
	s_wait_loadcnt 0x0
	v_cmp_ne_u32_e32 vcc_lo, v42, v3
	v_cmp_ne_u32_e64 s7, v42, v5
	v_mov_b32_e32 v21, 0
	s_or_b32 s7, vcc_lo, s7
	s_delay_alu instid0(SALU_CYCLE_1)
	s_and_saveexec_b32 s18, s7
	s_cbranch_execz .LBB4_814
; %bb.805:                              ;   in Loop: Header=BB4_799 Depth=2
	s_mov_b32 s22, 1
	s_mov_b32 s20, 0
                                        ; implicit-def: $sgpr19
                                        ; implicit-def: $sgpr21
	s_branch .LBB4_807
.LBB4_806:                              ;   in Loop: Header=BB4_807 Depth=3
	s_or_b32 exec_lo, exec_lo, s24
	s_delay_alu instid0(SALU_CYCLE_1) | instskip(NEXT) | instid1(SALU_CYCLE_1)
	s_and_b32 s7, exec_lo, s7
	s_or_b32 s20, s7, s20
	s_and_not1_b32 s7, s19, exec_lo
	s_and_b32 s19, s21, exec_lo
	s_delay_alu instid0(SALU_CYCLE_1)
	s_or_b32 s19, s7, s19
	s_and_not1_b32 exec_lo, exec_lo, s20
	s_cbranch_execz .LBB4_811
.LBB4_807:                              ;   Parent Loop BB4_42 Depth=1
                                        ;     Parent Loop BB4_799 Depth=2
                                        ; =>    This Inner Loop Header: Depth=3
	s_wait_loadcnt 0x0
	global_load_b128 v[2:5], v[118:119], off th:TH_LOAD_NT
	s_add_co_i32 s22, s22, 1
	s_mov_b32 s7, -1
	s_cmp_lg_u32 s22, 0x2710
	s_mov_b32 s23, -1
                                        ; implicit-def: $vgpr64
	s_cbranch_scc0 .LBB4_809
; %bb.808:                              ;   in Loop: Header=BB4_807 Depth=3
	s_or_b32 s21, s21, exec_lo
	s_wait_xcnt 0x0
	s_and_saveexec_b32 s24, s23
	s_cbranch_execz .LBB4_806
	s_branch .LBB4_810
.LBB4_809:                              ;   in Loop: Header=BB4_807 Depth=3
	s_trap 2
	ds_load_b64 v[46:47], v0
	s_mov_b32 s22, 0
	s_wait_storecnt 0x0
	s_wait_loadcnt_dscnt 0x0
	flat_load_b32 v64, v[46:47] scope:SCOPE_SYS
	s_wait_loadcnt_dscnt 0x0
	global_inv scope:SCOPE_SYS
	v_cmp_eq_u32_e32 vcc_lo, 0, v64
	s_or_not1_b32 s23, vcc_lo, exec_lo
	s_or_b32 s21, s21, exec_lo
	s_wait_xcnt 0x0
	s_and_saveexec_b32 s24, s23
	s_cbranch_execz .LBB4_806
.LBB4_810:                              ;   in Loop: Header=BB4_807 Depth=3
	s_wait_loadcnt 0x0
	v_cmp_eq_u32_e32 vcc_lo, v42, v3
	v_cmp_eq_u32_e64 s7, v42, v5
	s_and_not1_b32 s21, s21, exec_lo
	s_and_b32 s7, vcc_lo, s7
	s_delay_alu instid0(SALU_CYCLE_1)
	s_or_not1_b32 s7, s7, exec_lo
	s_branch .LBB4_806
.LBB4_811:                              ;   in Loop: Header=BB4_799 Depth=2
	s_or_b32 exec_lo, exec_lo, s20
	v_mov_b32_e32 v21, 0
	s_and_saveexec_b32 s7, s19
	s_delay_alu instid0(SALU_CYCLE_1)
	s_xor_b32 s7, exec_lo, s7
	s_cbranch_execz .LBB4_813
; %bb.812:                              ;   in Loop: Header=BB4_799 Depth=2
	v_mov_b32_e32 v21, 1
	s_wait_loadcnt 0x0
	s_wait_storecnt 0x0
	ds_store_b32 v0, v64
	s_trap 2
.LBB4_813:                              ;   in Loop: Header=BB4_799 Depth=2
	s_or_b32 exec_lo, exec_lo, s7
.LBB4_814:                              ;   in Loop: Header=BB4_799 Depth=2
	s_delay_alu instid0(SALU_CYCLE_1)
	s_or_b32 exec_lo, exec_lo, s18
.LBB4_815:                              ;   in Loop: Header=BB4_799 Depth=2
	s_delay_alu instid0(SALU_CYCLE_1) | instskip(SKIP_3) | instid1(VALU_DEP_1)
	s_or_b32 exec_lo, exec_lo, s17
	v_dual_mov_b32 v117, 0 :: v_dual_lshlrev_b32 v46, 3, v112
	s_mov_b32 s7, exec_lo
	s_wait_loadcnt 0x1
	v_alignbit_b32 v64, v45, v40, v46
	s_delay_alu instid0(VALU_DEP_1) | instskip(NEXT) | instid1(VALU_DEP_1)
	v_and_b32_e32 v118, 0xff, v64
	v_cmpx_ne_u16_e32 0, v118
	s_cbranch_execz .LBB4_821
; %bb.816:                              ;   in Loop: Header=BB4_799 Depth=2
	v_bfrev_b32_e32 v117, 1
	s_mov_b32 s17, exec_lo
	v_cmpx_ne_u16_e32 0x80, v118
	s_cbranch_execz .LBB4_820
; %bb.817:                              ;   in Loop: Header=BB4_799 Depth=2
	v_and_b32_e32 v118, 0x7f, v64
	v_mov_b32_e32 v117, 0x7f800001
	s_mov_b32 s18, exec_lo
	s_delay_alu instid0(VALU_DEP_2)
	v_cmpx_ne_u32_e32 0x7f, v118
	s_cbranch_execz .LBB4_819
; %bb.818:                              ;   in Loop: Header=BB4_799 Depth=2
	v_dual_lshrrev_b32 v119, 3, v118 :: v_dual_bitop2_b32 v117, 7, v64 bitop3:0x40
	v_cmp_gt_u32_e32 vcc_lo, 8, v118
	s_delay_alu instid0(VALU_DEP_2) | instskip(NEXT) | instid1(VALU_DEP_1)
	v_clz_i32_u32_e32 v117, v117
	v_min_u32_e32 v117, 32, v117
	s_delay_alu instid0(VALU_DEP_1) | instskip(NEXT) | instid1(VALU_DEP_1)
	v_subrev_nc_u32_e32 v40, 28, v117
	v_dual_cndmask_b32 v118, 0, v40 :: v_dual_sub_nc_u32 v117, 29, v117
	s_delay_alu instid0(VALU_DEP_1) | instskip(NEXT) | instid1(VALU_DEP_2)
	v_cndmask_b32_e32 v117, v119, v117, vcc_lo
	v_lshlrev_b64_e32 v[118:119], v118, v[64:65]
	v_lshlrev_b32_e32 v119, 24, v64
	s_delay_alu instid0(VALU_DEP_3) | instskip(NEXT) | instid1(VALU_DEP_2)
	v_lshl_add_u32 v117, v117, 23, 0x3c000000
	v_and_b32_e32 v119, 0x80000000, v119
	s_delay_alu instid0(VALU_DEP_4) | instskip(NEXT) | instid1(VALU_DEP_1)
	v_lshlrev_b32_e32 v118, 20, v118
	v_and_b32_e32 v118, 0x700000, v118
	s_delay_alu instid0(VALU_DEP_1)
	v_or3_b32 v117, v118, v119, v117
.LBB4_819:                              ;   in Loop: Header=BB4_799 Depth=2
	s_or_b32 exec_lo, exec_lo, s18
.LBB4_820:                              ;   in Loop: Header=BB4_799 Depth=2
	s_delay_alu instid0(SALU_CYCLE_1)
	s_or_b32 exec_lo, exec_lo, s17
.LBB4_821:                              ;   in Loop: Header=BB4_799 Depth=2
	s_delay_alu instid0(SALU_CYCLE_1) | instskip(NEXT) | instid1(VALU_DEP_1)
	s_or_b32 exec_lo, exec_lo, s7
	v_dual_mul_f32 v118, v30, v117 :: v_dual_mov_b32 v41, v65
                                        ; implicit-def: $vgpr117
	s_mov_b32 s7, exec_lo
	s_delay_alu instid0(VALU_DEP_1) | instskip(SKIP_1) | instid1(VALU_DEP_2)
	v_and_b32_e32 v40, 0x7f800000, v118
	v_lshrrev_b32_e32 v119, 24, v118
	v_cmpx_ne_u64_e32 0x7f800000, v[40:41]
	s_xor_b32 s17, exec_lo, s7
	s_cbranch_execz .LBB4_835
; %bb.822:                              ;   in Loop: Header=BB4_799 Depth=2
	v_and_b32_e32 v40, 0x7fffffff, v118
	v_mov_b32_e32 v41, v65
	v_and_b32_e32 v44, 0x80, v119
                                        ; implicit-def: $vgpr117
	s_mov_b32 s7, exec_lo
	s_delay_alu instid0(VALU_DEP_2)
	v_cmpx_gt_u64_e32 0x43e00001, v[40:41]
	s_xor_b32 s18, exec_lo, s7
	s_cbranch_execz .LBB4_832
; %bb.823:                              ;   in Loop: Header=BB4_799 Depth=2
	v_mov_b32_e32 v117, 0
	s_mov_b32 s19, exec_lo
	v_cmpx_ne_u32_e32 0, v118
	s_cbranch_execz .LBB4_831
; %bb.824:                              ;   in Loop: Header=BB4_799 Depth=2
	v_bfe_u32 v117, v118, 23, 8
	v_and_b32_e32 v40, 0x7fffff, v118
	s_mov_b32 s20, exec_lo
	s_delay_alu instid0(VALU_DEP_2) | instskip(NEXT) | instid1(VALU_DEP_2)
	v_cmp_gt_u32_e32 vcc_lo, 0x7a, v117
	v_or_b32_e32 v41, 0x800000, v40
	v_sub_nc_u32_e32 v119, 0x79, v117
	s_delay_alu instid0(VALU_DEP_1) | instskip(SKIP_1) | instid1(VALU_DEP_4)
	v_cndmask_b32_e32 v119, 0, v119, vcc_lo
	v_cmp_eq_u32_e32 vcc_lo, 0, v117
	v_cndmask_b32_e32 v40, v41, v40, vcc_lo
	v_mov_b32_e32 v41, v65
	s_delay_alu instid0(VALU_DEP_4) | instskip(NEXT) | instid1(VALU_DEP_1)
	v_cndmask_b32_e64 v47, v119, 0x78, vcc_lo
	v_dual_add_nc_u32 v118, 20, v47 :: v_dual_add_nc_u32 v59, 19, v47
	s_delay_alu instid0(VALU_DEP_1) | instskip(NEXT) | instid1(VALU_DEP_2)
	v_lshlrev_b64_e64 v[118:119], v118, -1
	v_lshlrev_b64_e64 v[60:61], v59, 1
	s_delay_alu instid0(VALU_DEP_2) | instskip(NEXT) | instid1(VALU_DEP_3)
	v_bfi_b32 v63, v119, 0, 0
	v_bfi_b32 v62, v118, 0, v40
	v_lshrrev_b64 v[118:119], v47, v[40:41]
	s_delay_alu instid0(VALU_DEP_1) | instskip(NEXT) | instid1(VALU_DEP_3)
	v_mov_b64_e32 v[40:41], v[118:119]
	v_cmpx_eq_u64_e64 v[62:63], v[60:61]
; %bb.825:                              ;   in Loop: Header=BB4_799 Depth=2
	v_bfe_u32 v40, v118, 20, 1
	v_mov_b32_e32 v41, v65
	s_delay_alu instid0(VALU_DEP_1) | instskip(NEXT) | instid1(VALU_DEP_1)
	v_add_nc_u64_e32 v[40:41], v[118:119], v[40:41]
	v_add_nc_u64_e32 v[40:41], -1, v[40:41]
; %bb.826:                              ;   in Loop: Header=BB4_799 Depth=2
	s_or_b32 exec_lo, exec_lo, s20
	v_add_nc_u32_e32 v117, 0xffffff81, v117
	v_lshrrev_b32_e32 v119, 23, v118
	s_mov_b32 s7, exec_lo
	s_delay_alu instid0(VALU_DEP_2) | instskip(NEXT) | instid1(VALU_DEP_1)
	v_cndmask_b32_e64 v117, v117, 0xffffff82, vcc_lo
	v_add3_u32 v41, v47, v117, v119
	v_and_b32_e32 v117, 0xfffff, v40
	s_delay_alu instid0(VALU_DEP_2) | instskip(NEXT) | instid1(VALU_DEP_2)
	v_dual_mov_b32 v119, v65 :: v_dual_add_nc_u32 v40, 6, v41
	v_add_nc_u32_e32 v118, v117, v118
                                        ; implicit-def: $vgpr117
	s_delay_alu instid0(VALU_DEP_2)
	v_cmpx_ne_u32_e32 0, v40
	s_xor_b32 s7, exec_lo, s7
; %bb.827:                              ;   in Loop: Header=BB4_799 Depth=2
	s_delay_alu instid0(VALU_DEP_2) | instskip(SKIP_1) | instid1(VALU_DEP_1)
	v_cmp_lt_u64_e32 vcc_lo, 0xffffff, v[118:119]
	v_add_nc_u32_e32 v117, 7, v41
	v_cndmask_b32_e32 v117, v40, v117, vcc_lo
	v_cndmask_b32_e64 v40, 0, 1, vcc_lo
	s_delay_alu instid0(VALU_DEP_1)
	v_lshrrev_b64 v[118:119], v40, v[118:119]
; %bb.828:                              ;   in Loop: Header=BB4_799 Depth=2
	s_and_not1_saveexec_b32 s7, s7
; %bb.829:                              ;   in Loop: Header=BB4_799 Depth=2
	s_delay_alu instid0(VALU_DEP_1)
	v_bfe_u32 v117, v118, 23, 1
; %bb.830:                              ;   in Loop: Header=BB4_799 Depth=2
	s_or_b32 exec_lo, exec_lo, s7
	s_delay_alu instid0(VALU_DEP_2) | instskip(NEXT) | instid1(VALU_DEP_2)
	v_lshrrev_b64 v[118:119], 20, v[118:119]
	v_cmp_gt_i32_e32 vcc_lo, 16, v117
	v_min_i32_e32 v40, 15, v117
	v_cmp_eq_u32_e64 s7, 0, v117
	s_delay_alu instid0(VALU_DEP_2) | instskip(SKIP_1) | instid1(VALU_DEP_2)
	v_dual_cndmask_b32 v119, 0, v119 :: v_dual_lshlrev_b32 v40, 3, v40
	v_cndmask_b32_e32 v118, 7, v118, vcc_lo
	v_and_b32_e32 v40, 0xf8, v40
	s_delay_alu instid0(VALU_DEP_2) | instskip(NEXT) | instid1(VALU_DEP_2)
	v_cmp_eq_u64_e32 vcc_lo, 0, v[118:119]
	v_and_or_b32 v117, v118, 7, v40
	s_and_b32 s7, s7, vcc_lo
	s_delay_alu instid0(VALU_DEP_1) | instid1(SALU_CYCLE_1)
	v_cndmask_b32_e64 v117, v117, 0, s7
	s_delay_alu instid0(VALU_DEP_1)
	v_or_b32_e32 v117, v117, v44
.LBB4_831:                              ;   in Loop: Header=BB4_799 Depth=2
	s_or_b32 exec_lo, exec_lo, s19
                                        ; implicit-def: $vgpr44
.LBB4_832:                              ;   in Loop: Header=BB4_799 Depth=2
	s_and_not1_saveexec_b32 s7, s18
; %bb.833:                              ;   in Loop: Header=BB4_799 Depth=2
	v_or_b32_e32 v117, 0x7e, v44
; %bb.834:                              ;   in Loop: Header=BB4_799 Depth=2
	s_or_b32 exec_lo, exec_lo, s7
                                        ; implicit-def: $vgpr119
.LBB4_835:                              ;   in Loop: Header=BB4_799 Depth=2
	s_and_not1_saveexec_b32 s7, s17
; %bb.836:                              ;   in Loop: Header=BB4_799 Depth=2
	v_or_b32_e32 v117, 0x7f, v119
; %bb.837:                              ;   in Loop: Header=BB4_799 Depth=2
	s_or_b32 exec_lo, exec_lo, s7
	v_lshrrev_b16 v119, 8, v64
	v_mov_b32_e32 v118, 0
	s_mov_b32 s7, exec_lo
	s_delay_alu instid0(VALU_DEP_2)
	v_cmpx_ne_u16_e32 0, v119
	s_cbranch_execz .LBB4_845
; %bb.838:                              ;   in Loop: Header=BB4_799 Depth=2
	v_bfrev_b32_e32 v118, 1
	s_mov_b32 s17, exec_lo
	v_cmpx_ne_u16_e32 0x80, v119
	s_cbranch_execz .LBB4_844
; %bb.839:                              ;   in Loop: Header=BB4_799 Depth=2
	v_and_b32_e32 v119, 0xffff, v119
	v_mov_b32_e32 v118, 0x7f800001
	s_mov_b32 s18, exec_lo
	s_delay_alu instid0(VALU_DEP_2) | instskip(NEXT) | instid1(VALU_DEP_1)
	v_and_b32_e32 v41, 0x7f, v119
	v_cmpx_ne_u32_e32 0x7f, v41
	s_cbranch_execz .LBB4_843
; %bb.840:                              ;   in Loop: Header=BB4_799 Depth=2
	v_dual_mov_b32 v119, v65 :: v_dual_bitop2_b32 v118, 7, v119 bitop3:0x40
	v_lshrrev_b32_e32 v40, 3, v41
	s_mov_b32 s19, exec_lo
	v_cmpx_gt_u32_e32 8, v41
; %bb.841:                              ;   in Loop: Header=BB4_799 Depth=2
	s_delay_alu instid0(VALU_DEP_3) | instskip(NEXT) | instid1(VALU_DEP_1)
	v_clz_i32_u32_e32 v40, v118
	v_min_u32_e32 v40, 32, v40
	s_delay_alu instid0(VALU_DEP_1) | instskip(NEXT) | instid1(VALU_DEP_1)
	v_subrev_nc_u32_e32 v41, 28, v40
	v_lshlrev_b64_e32 v[118:119], v41, v[118:119]
	s_delay_alu instid0(VALU_DEP_1)
	v_dual_sub_nc_u32 v40, 29, v40 :: v_dual_bitop2_b32 v118, 7, v118 bitop3:0x40
; %bb.842:                              ;   in Loop: Header=BB4_799 Depth=2
	s_or_b32 exec_lo, exec_lo, s19
	s_delay_alu instid0(VALU_DEP_1) | instskip(NEXT) | instid1(VALU_DEP_2)
	v_dual_lshlrev_b32 v119, 16, v64 :: v_dual_lshlrev_b32 v118, 20, v118
	v_lshl_add_u32 v40, v40, 23, 0x3c000000
	s_delay_alu instid0(VALU_DEP_2) | instskip(NEXT) | instid1(VALU_DEP_1)
	v_and_b32_e32 v119, 0x80000000, v119
	v_or3_b32 v118, v118, v119, v40
.LBB4_843:                              ;   in Loop: Header=BB4_799 Depth=2
	s_or_b32 exec_lo, exec_lo, s18
.LBB4_844:                              ;   in Loop: Header=BB4_799 Depth=2
	s_delay_alu instid0(SALU_CYCLE_1)
	s_or_b32 exec_lo, exec_lo, s17
.LBB4_845:                              ;   in Loop: Header=BB4_799 Depth=2
	s_delay_alu instid0(SALU_CYCLE_1) | instskip(NEXT) | instid1(VALU_DEP_1)
	s_or_b32 exec_lo, exec_lo, s7
	v_dual_mul_f32 v118, v30, v118 :: v_dual_mov_b32 v41, v65
                                        ; implicit-def: $vgpr44
	s_mov_b32 s7, exec_lo
	s_delay_alu instid0(VALU_DEP_1) | instskip(SKIP_1) | instid1(VALU_DEP_2)
	v_and_b32_e32 v40, 0x7f800000, v118
	v_lshrrev_b32_e32 v119, 24, v118
	v_cmpx_ne_u64_e32 0x7f800000, v[40:41]
	s_xor_b32 s17, exec_lo, s7
	s_cbranch_execz .LBB4_859
; %bb.846:                              ;   in Loop: Header=BB4_799 Depth=2
	v_and_b32_e32 v40, 0x7fffffff, v118
	v_mov_b32_e32 v41, v65
	v_and_b32_e32 v47, 0x80, v119
                                        ; implicit-def: $vgpr44
	s_mov_b32 s7, exec_lo
	s_delay_alu instid0(VALU_DEP_2)
	v_cmpx_gt_u64_e32 0x43e00001, v[40:41]
	s_xor_b32 s18, exec_lo, s7
	s_cbranch_execz .LBB4_856
; %bb.847:                              ;   in Loop: Header=BB4_799 Depth=2
	v_mov_b32_e32 v44, 0
	s_mov_b32 s19, exec_lo
	v_cmpx_ne_u32_e32 0, v118
	s_cbranch_execz .LBB4_855
; %bb.848:                              ;   in Loop: Header=BB4_799 Depth=2
	v_bfe_u32 v44, v118, 23, 8
	v_and_b32_e32 v40, 0x7fffff, v118
	s_mov_b32 s20, exec_lo
	s_delay_alu instid0(VALU_DEP_2) | instskip(SKIP_1) | instid1(VALU_DEP_3)
	v_sub_nc_u32_e32 v119, 0x79, v44
	v_cmp_gt_u32_e32 vcc_lo, 0x7a, v44
	v_or_b32_e32 v41, 0x800000, v40
	s_delay_alu instid0(VALU_DEP_3) | instskip(SKIP_1) | instid1(VALU_DEP_3)
	v_cndmask_b32_e32 v119, 0, v119, vcc_lo
	v_cmp_eq_u32_e32 vcc_lo, 0, v44
	v_cndmask_b32_e32 v40, v41, v40, vcc_lo
	s_delay_alu instid0(VALU_DEP_3) | instskip(NEXT) | instid1(VALU_DEP_1)
	v_cndmask_b32_e64 v59, v119, 0x78, vcc_lo
	v_dual_mov_b32 v41, v65 :: v_dual_add_nc_u32 v118, 20, v59
	v_add_nc_u32_e32 v60, 19, v59
	s_delay_alu instid0(VALU_DEP_2) | instskip(NEXT) | instid1(VALU_DEP_2)
	v_lshlrev_b64_e64 v[118:119], v118, -1
	v_lshlrev_b64_e64 v[60:61], v60, 1
	s_delay_alu instid0(VALU_DEP_2) | instskip(NEXT) | instid1(VALU_DEP_3)
	v_bfi_b32 v63, v119, 0, 0
	v_bfi_b32 v62, v118, 0, v40
	v_lshrrev_b64 v[118:119], v59, v[40:41]
	s_delay_alu instid0(VALU_DEP_1) | instskip(NEXT) | instid1(VALU_DEP_3)
	v_mov_b64_e32 v[40:41], v[118:119]
	v_cmpx_eq_u64_e64 v[62:63], v[60:61]
; %bb.849:                              ;   in Loop: Header=BB4_799 Depth=2
	v_bfe_u32 v40, v118, 20, 1
	v_mov_b32_e32 v41, v65
	s_delay_alu instid0(VALU_DEP_1) | instskip(NEXT) | instid1(VALU_DEP_1)
	v_add_nc_u64_e32 v[40:41], v[118:119], v[40:41]
	v_add_nc_u64_e32 v[40:41], -1, v[40:41]
; %bb.850:                              ;   in Loop: Header=BB4_799 Depth=2
	s_or_b32 exec_lo, exec_lo, s20
	v_add_nc_u32_e32 v119, 0xffffff81, v44
	v_lshrrev_b32_e32 v41, 23, v118
	s_mov_b32 s7, exec_lo
	s_delay_alu instid0(VALU_DEP_2) | instskip(NEXT) | instid1(VALU_DEP_1)
	v_cndmask_b32_e64 v119, v119, 0xffffff82, vcc_lo
	v_add3_u32 v41, v59, v119, v41
	v_and_b32_e32 v119, 0xfffff, v40
                                        ; implicit-def: $vgpr40
	s_delay_alu instid0(VALU_DEP_1) | instskip(SKIP_1) | instid1(VALU_DEP_2)
	v_dual_add_nc_u32 v44, 6, v41 :: v_dual_add_nc_u32 v118, v119, v118
	v_mov_b32_e32 v119, v65
	v_cmpx_ne_u32_e32 0, v44
	s_xor_b32 s7, exec_lo, s7
; %bb.851:                              ;   in Loop: Header=BB4_799 Depth=2
	s_delay_alu instid0(VALU_DEP_2) | instskip(SKIP_2) | instid1(VALU_DEP_2)
	v_cmp_lt_u64_e32 vcc_lo, 0xffffff, v[118:119]
	v_add_nc_u32_e32 v40, 7, v41
	v_cndmask_b32_e64 v41, 0, 1, vcc_lo
	v_cndmask_b32_e32 v40, v44, v40, vcc_lo
	s_delay_alu instid0(VALU_DEP_2)
	v_lshrrev_b64 v[118:119], v41, v[118:119]
; %bb.852:                              ;   in Loop: Header=BB4_799 Depth=2
	s_and_not1_saveexec_b32 s7, s7
; %bb.853:                              ;   in Loop: Header=BB4_799 Depth=2
	s_delay_alu instid0(VALU_DEP_1)
	v_bfe_u32 v40, v118, 23, 1
; %bb.854:                              ;   in Loop: Header=BB4_799 Depth=2
	s_or_b32 exec_lo, exec_lo, s7
	s_delay_alu instid0(VALU_DEP_2) | instskip(NEXT) | instid1(VALU_DEP_2)
	v_lshrrev_b64 v[118:119], 20, v[118:119]
	v_cmp_gt_i32_e32 vcc_lo, 16, v40
	v_min_i32_e32 v41, 15, v40
	v_cmp_eq_u32_e64 s7, 0, v40
	s_delay_alu instid0(VALU_DEP_2) | instskip(SKIP_1) | instid1(VALU_DEP_2)
	v_dual_cndmask_b32 v119, 0, v119, vcc_lo :: v_dual_lshlrev_b32 v41, 3, v41
	v_cndmask_b32_e32 v118, 7, v118, vcc_lo
	v_and_b32_e32 v41, 0xf8, v41
	s_delay_alu instid0(VALU_DEP_2) | instskip(NEXT) | instid1(VALU_DEP_2)
	v_cmp_eq_u64_e32 vcc_lo, 0, v[118:119]
	v_and_or_b32 v118, v118, 7, v41
	s_and_b32 s7, s7, vcc_lo
	s_delay_alu instid0(VALU_DEP_1) | instid1(SALU_CYCLE_1)
	v_cndmask_b32_e64 v118, v118, 0, s7
	s_delay_alu instid0(VALU_DEP_1)
	v_or_b32_e32 v44, v118, v47
.LBB4_855:                              ;   in Loop: Header=BB4_799 Depth=2
	s_or_b32 exec_lo, exec_lo, s19
                                        ; implicit-def: $vgpr47
.LBB4_856:                              ;   in Loop: Header=BB4_799 Depth=2
	s_and_not1_saveexec_b32 s7, s18
; %bb.857:                              ;   in Loop: Header=BB4_799 Depth=2
	v_or_b32_e32 v44, 0x7e, v47
; %bb.858:                              ;   in Loop: Header=BB4_799 Depth=2
	s_or_b32 exec_lo, exec_lo, s7
                                        ; implicit-def: $vgpr119
.LBB4_859:                              ;   in Loop: Header=BB4_799 Depth=2
	s_and_not1_saveexec_b32 s7, s17
; %bb.860:                              ;   in Loop: Header=BB4_799 Depth=2
	v_or_b32_e32 v44, 0x7f, v119
; %bb.861:                              ;   in Loop: Header=BB4_799 Depth=2
	s_or_b32 exec_lo, exec_lo, s7
	v_dual_lshrrev_b32 v40, 16, v64 :: v_dual_mov_b32 v118, 0
	s_mov_b32 s7, exec_lo
	s_delay_alu instid0(VALU_DEP_1) | instskip(NEXT) | instid1(VALU_DEP_1)
	v_and_b32_e32 v119, 0xff, v40
	v_cmpx_ne_u16_e32 0, v119
	s_cbranch_execz .LBB4_869
; %bb.862:                              ;   in Loop: Header=BB4_799 Depth=2
	v_bfrev_b32_e32 v118, 1
	s_mov_b32 s17, exec_lo
	v_cmpx_ne_u16_e32 0x80, v119
	s_cbranch_execz .LBB4_868
; %bb.863:                              ;   in Loop: Header=BB4_799 Depth=2
	v_bfe_u32 v47, v64, 16, 7
	v_mov_b32_e32 v118, 0x7f800001
	s_mov_b32 s18, exec_lo
	s_delay_alu instid0(VALU_DEP_2)
	v_cmpx_ne_u32_e32 0x7f, v47
	s_cbranch_execz .LBB4_867
; %bb.864:                              ;   in Loop: Header=BB4_799 Depth=2
	v_dual_mov_b32 v119, v65 :: v_dual_bitop2_b32 v118, 7, v40 bitop3:0x40
	v_lshrrev_b32_e32 v41, 3, v47
	s_mov_b32 s19, exec_lo
	v_cmpx_gt_u32_e32 8, v47
; %bb.865:                              ;   in Loop: Header=BB4_799 Depth=2
	s_delay_alu instid0(VALU_DEP_3) | instskip(NEXT) | instid1(VALU_DEP_1)
	v_clz_i32_u32_e32 v41, v118
	v_min_u32_e32 v41, 32, v41
	s_delay_alu instid0(VALU_DEP_1) | instskip(NEXT) | instid1(VALU_DEP_1)
	v_subrev_nc_u32_e32 v47, 28, v41
	v_lshlrev_b64_e32 v[118:119], v47, v[118:119]
	s_delay_alu instid0(VALU_DEP_1)
	v_dual_sub_nc_u32 v41, 29, v41 :: v_dual_bitop2_b32 v118, 7, v118 bitop3:0x40
; %bb.866:                              ;   in Loop: Header=BB4_799 Depth=2
	s_or_b32 exec_lo, exec_lo, s19
	s_delay_alu instid0(VALU_DEP_1) | instskip(NEXT) | instid1(VALU_DEP_2)
	v_dual_lshlrev_b32 v119, 24, v40 :: v_dual_lshlrev_b32 v118, 20, v118
	v_lshl_add_u32 v40, v41, 23, 0x3c000000
	s_delay_alu instid0(VALU_DEP_2) | instskip(NEXT) | instid1(VALU_DEP_1)
	v_and_b32_e32 v119, 0x80000000, v119
	v_or3_b32 v118, v118, v119, v40
.LBB4_867:                              ;   in Loop: Header=BB4_799 Depth=2
	s_or_b32 exec_lo, exec_lo, s18
.LBB4_868:                              ;   in Loop: Header=BB4_799 Depth=2
	s_delay_alu instid0(SALU_CYCLE_1)
	s_or_b32 exec_lo, exec_lo, s17
.LBB4_869:                              ;   in Loop: Header=BB4_799 Depth=2
	s_delay_alu instid0(SALU_CYCLE_1) | instskip(NEXT) | instid1(VALU_DEP_1)
	s_or_b32 exec_lo, exec_lo, s7
	v_dual_mul_f32 v118, v30, v118 :: v_dual_mov_b32 v41, v65
                                        ; implicit-def: $vgpr59
	s_mov_b32 s7, exec_lo
	s_delay_alu instid0(VALU_DEP_1) | instskip(SKIP_1) | instid1(VALU_DEP_2)
	v_and_b32_e32 v40, 0x7f800000, v118
	v_lshrrev_b32_e32 v119, 24, v118
	v_cmpx_ne_u64_e32 0x7f800000, v[40:41]
	s_xor_b32 s17, exec_lo, s7
	s_cbranch_execz .LBB4_883
; %bb.870:                              ;   in Loop: Header=BB4_799 Depth=2
	v_and_b32_e32 v40, 0x7fffffff, v118
	v_mov_b32_e32 v41, v65
	v_and_b32_e32 v47, 0x80, v119
                                        ; implicit-def: $vgpr59
	s_mov_b32 s7, exec_lo
	s_delay_alu instid0(VALU_DEP_2)
	v_cmpx_gt_u64_e32 0x43e00001, v[40:41]
	s_xor_b32 s18, exec_lo, s7
	s_cbranch_execz .LBB4_880
; %bb.871:                              ;   in Loop: Header=BB4_799 Depth=2
	v_mov_b32_e32 v59, 0
	s_mov_b32 s19, exec_lo
	v_cmpx_ne_u32_e32 0, v118
	s_cbranch_execz .LBB4_879
; %bb.872:                              ;   in Loop: Header=BB4_799 Depth=2
	v_bfe_u32 v59, v118, 23, 8
	v_and_b32_e32 v119, 0x7fffff, v118
	s_delay_alu instid0(VALU_DEP_2) | instskip(SKIP_2) | instid1(VALU_DEP_4)
	v_cmp_gt_u32_e64 s7, 0x7a, v59
	v_sub_nc_u32_e32 v118, 0x79, v59
	v_cmp_eq_u32_e32 vcc_lo, 0, v59
	v_or_b32_e32 v40, 0x800000, v119
	s_delay_alu instid0(VALU_DEP_3) | instskip(NEXT) | instid1(VALU_DEP_1)
	v_cndmask_b32_e64 v118, 0, v118, s7
	v_cndmask_b32_e64 v60, v118, 0x78, vcc_lo
	s_delay_alu instid0(VALU_DEP_3) | instskip(NEXT) | instid1(VALU_DEP_2)
	v_dual_cndmask_b32 v118, v40, v119 :: v_dual_mov_b32 v119, v65
	v_dual_add_nc_u32 v40, 20, v60 :: v_dual_add_nc_u32 v61, 19, v60
	s_delay_alu instid0(VALU_DEP_1) | instskip(NEXT) | instid1(VALU_DEP_2)
	v_lshlrev_b64_e64 v[40:41], v40, -1
	v_lshlrev_b64_e64 v[62:63], v61, 1
	s_delay_alu instid0(VALU_DEP_2) | instskip(SKIP_1) | instid1(VALU_DEP_4)
	v_bfi_b32 v40, v40, 0, v118
	v_lshrrev_b64 v[118:119], v60, v[118:119]
	v_bfi_b32 v41, v41, 0, 0
	s_delay_alu instid0(VALU_DEP_1) | instskip(NEXT) | instid1(VALU_DEP_3)
	v_cmp_eq_u64_e64 s7, v[40:41], v[62:63]
	v_mov_b64_e32 v[40:41], v[118:119]
	s_and_saveexec_b32 s20, s7
; %bb.873:                              ;   in Loop: Header=BB4_799 Depth=2
	v_bfe_u32 v40, v118, 20, 1
	v_mov_b32_e32 v41, v65
	s_delay_alu instid0(VALU_DEP_1) | instskip(NEXT) | instid1(VALU_DEP_1)
	v_add_nc_u64_e32 v[40:41], v[118:119], v[40:41]
	v_add_nc_u64_e32 v[40:41], -1, v[40:41]
; %bb.874:                              ;   in Loop: Header=BB4_799 Depth=2
	s_or_b32 exec_lo, exec_lo, s20
	v_add_nc_u32_e32 v119, 0xffffff81, v59
	v_lshrrev_b32_e32 v41, 23, v118
	s_mov_b32 s7, exec_lo
	s_delay_alu instid0(VALU_DEP_2) | instskip(NEXT) | instid1(VALU_DEP_1)
	v_cndmask_b32_e64 v119, v119, 0xffffff82, vcc_lo
	v_add3_u32 v41, v60, v119, v41
	v_and_b32_e32 v119, 0xfffff, v40
                                        ; implicit-def: $vgpr40
	s_delay_alu instid0(VALU_DEP_1) | instskip(SKIP_1) | instid1(VALU_DEP_2)
	v_dual_add_nc_u32 v59, 6, v41 :: v_dual_add_nc_u32 v118, v119, v118
	v_mov_b32_e32 v119, v65
	v_cmpx_ne_u32_e32 0, v59
	s_xor_b32 s7, exec_lo, s7
; %bb.875:                              ;   in Loop: Header=BB4_799 Depth=2
	s_delay_alu instid0(VALU_DEP_2) | instskip(SKIP_2) | instid1(VALU_DEP_2)
	v_cmp_lt_u64_e32 vcc_lo, 0xffffff, v[118:119]
	v_add_nc_u32_e32 v40, 7, v41
	v_cndmask_b32_e64 v41, 0, 1, vcc_lo
	v_cndmask_b32_e32 v40, v59, v40, vcc_lo
	s_delay_alu instid0(VALU_DEP_2)
	v_lshrrev_b64 v[118:119], v41, v[118:119]
; %bb.876:                              ;   in Loop: Header=BB4_799 Depth=2
	s_and_not1_saveexec_b32 s7, s7
; %bb.877:                              ;   in Loop: Header=BB4_799 Depth=2
	s_delay_alu instid0(VALU_DEP_1)
	v_bfe_u32 v40, v118, 23, 1
; %bb.878:                              ;   in Loop: Header=BB4_799 Depth=2
	s_or_b32 exec_lo, exec_lo, s7
	s_delay_alu instid0(VALU_DEP_2) | instskip(NEXT) | instid1(VALU_DEP_2)
	v_lshrrev_b64 v[118:119], 20, v[118:119]
	v_cmp_gt_i32_e32 vcc_lo, 16, v40
	v_min_i32_e32 v41, 15, v40
	v_cmp_eq_u32_e64 s7, 0, v40
	s_delay_alu instid0(VALU_DEP_2) | instskip(SKIP_1) | instid1(VALU_DEP_2)
	v_dual_cndmask_b32 v119, 0, v119, vcc_lo :: v_dual_lshlrev_b32 v41, 3, v41
	v_cndmask_b32_e32 v118, 7, v118, vcc_lo
	v_and_b32_e32 v41, 0xf8, v41
	s_delay_alu instid0(VALU_DEP_2) | instskip(NEXT) | instid1(VALU_DEP_2)
	v_cmp_eq_u64_e32 vcc_lo, 0, v[118:119]
	v_and_or_b32 v118, v118, 7, v41
	s_and_b32 s7, s7, vcc_lo
	s_delay_alu instid0(VALU_DEP_1) | instid1(SALU_CYCLE_1)
	v_cndmask_b32_e64 v118, v118, 0, s7
	s_delay_alu instid0(VALU_DEP_1)
	v_or_b32_e32 v59, v118, v47
.LBB4_879:                              ;   in Loop: Header=BB4_799 Depth=2
	s_or_b32 exec_lo, exec_lo, s19
                                        ; implicit-def: $vgpr47
.LBB4_880:                              ;   in Loop: Header=BB4_799 Depth=2
	s_and_not1_saveexec_b32 s7, s18
; %bb.881:                              ;   in Loop: Header=BB4_799 Depth=2
	v_or_b32_e32 v59, 0x7e, v47
; %bb.882:                              ;   in Loop: Header=BB4_799 Depth=2
	s_or_b32 exec_lo, exec_lo, s7
                                        ; implicit-def: $vgpr119
.LBB4_883:                              ;   in Loop: Header=BB4_799 Depth=2
	s_and_not1_saveexec_b32 s7, s17
; %bb.884:                              ;   in Loop: Header=BB4_799 Depth=2
	v_or_b32_e32 v59, 0x7f, v119
; %bb.885:                              ;   in Loop: Header=BB4_799 Depth=2
	s_or_b32 exec_lo, exec_lo, s7
	v_mov_b32_e32 v119, 0
	s_mov_b32 s7, exec_lo
	v_cmpx_lt_u32_e32 0xffffff, v64
	s_cbranch_execz .LBB4_893
; %bb.886:                              ;   in Loop: Header=BB4_799 Depth=2
	v_lshrrev_b32_e32 v118, 24, v64
	v_bfrev_b32_e32 v119, 1
	s_mov_b32 s17, exec_lo
	s_delay_alu instid0(VALU_DEP_2)
	v_cmpx_ne_u32_e32 0x80, v118
	s_cbranch_execz .LBB4_892
; %bb.887:                              ;   in Loop: Header=BB4_799 Depth=2
	v_bfe_u32 v40, v64, 24, 7
	v_mov_b32_e32 v119, 0x7f800001
	s_mov_b32 s18, exec_lo
	s_delay_alu instid0(VALU_DEP_2)
	v_cmpx_ne_u32_e32 0x7f, v40
	s_cbranch_execz .LBB4_891
; %bb.888:                              ;   in Loop: Header=BB4_799 Depth=2
	v_dual_lshrrev_b32 v119, 3, v40 :: v_dual_bitop2_b32 v64, 7, v118 bitop3:0x40
	s_mov_b32 s19, exec_lo
	v_cmpx_gt_u32_e32 8, v40
; %bb.889:                              ;   in Loop: Header=BB4_799 Depth=2
	s_delay_alu instid0(VALU_DEP_2) | instskip(NEXT) | instid1(VALU_DEP_1)
	v_clz_i32_u32_e32 v119, v64
	v_min_u32_e32 v119, 32, v119
	s_delay_alu instid0(VALU_DEP_1) | instskip(NEXT) | instid1(VALU_DEP_1)
	v_subrev_nc_u32_e32 v40, 28, v119
	v_lshlrev_b64_e32 v[40:41], v40, v[64:65]
	s_delay_alu instid0(VALU_DEP_1)
	v_dual_sub_nc_u32 v119, 29, v119 :: v_dual_bitop2_b32 v64, 7, v40 bitop3:0x40
; %bb.890:                              ;   in Loop: Header=BB4_799 Depth=2
	s_or_b32 exec_lo, exec_lo, s19
	s_delay_alu instid0(VALU_DEP_1) | instskip(NEXT) | instid1(VALU_DEP_2)
	v_dual_lshlrev_b32 v118, 24, v118 :: v_dual_lshlrev_b32 v64, 20, v64
	v_lshl_add_u32 v119, v119, 23, 0x3c000000
	s_delay_alu instid0(VALU_DEP_2) | instskip(NEXT) | instid1(VALU_DEP_1)
	v_and_b32_e32 v118, 0x80000000, v118
	v_or3_b32 v119, v64, v118, v119
.LBB4_891:                              ;   in Loop: Header=BB4_799 Depth=2
	s_or_b32 exec_lo, exec_lo, s18
.LBB4_892:                              ;   in Loop: Header=BB4_799 Depth=2
	s_delay_alu instid0(SALU_CYCLE_1)
	s_or_b32 exec_lo, exec_lo, s17
.LBB4_893:                              ;   in Loop: Header=BB4_799 Depth=2
	s_delay_alu instid0(SALU_CYCLE_1) | instskip(NEXT) | instid1(VALU_DEP_1)
	s_or_b32 exec_lo, exec_lo, s7
	v_mul_f32_e32 v118, v30, v119
                                        ; implicit-def: $vgpr60
	s_mov_b32 s7, exec_lo
	s_delay_alu instid0(VALU_DEP_1) | instskip(SKIP_1) | instid1(VALU_DEP_2)
	v_and_b32_e32 v64, 0x7f800000, v118
	v_lshrrev_b32_e32 v119, 24, v118
	v_cmpx_ne_u64_e32 0x7f800000, v[64:65]
	s_xor_b32 s17, exec_lo, s7
	s_cbranch_execz .LBB4_907
; %bb.894:                              ;   in Loop: Header=BB4_799 Depth=2
	v_and_b32_e32 v64, 0x7fffffff, v118
	v_and_b32_e32 v47, 0x80, v119
                                        ; implicit-def: $vgpr60
	s_mov_b32 s7, exec_lo
	s_delay_alu instid0(VALU_DEP_2)
	v_cmpx_gt_u64_e32 0x43e00001, v[64:65]
	s_xor_b32 s18, exec_lo, s7
	s_cbranch_execz .LBB4_904
; %bb.895:                              ;   in Loop: Header=BB4_799 Depth=2
	v_mov_b32_e32 v60, 0
	s_mov_b32 s19, exec_lo
	v_cmpx_ne_u32_e32 0, v118
	s_cbranch_execz .LBB4_903
; %bb.896:                              ;   in Loop: Header=BB4_799 Depth=2
	v_bfe_u32 v60, v118, 23, 8
	s_delay_alu instid0(VALU_DEP_1) | instskip(SKIP_1) | instid1(VALU_DEP_2)
	v_sub_nc_u32_e32 v64, 0x79, v60
	v_cmp_gt_u32_e32 vcc_lo, 0x7a, v60
	v_cndmask_b32_e32 v64, 0, v64, vcc_lo
	v_cmp_eq_u32_e32 vcc_lo, 0, v60
	s_delay_alu instid0(VALU_DEP_2) | instskip(SKIP_1) | instid1(VALU_DEP_2)
	v_cndmask_b32_e64 v61, v64, 0x78, vcc_lo
	v_and_b32_e32 v64, 0x7fffff, v118
	v_add_nc_u32_e32 v118, 20, v61
	s_delay_alu instid0(VALU_DEP_2) | instskip(SKIP_1) | instid1(VALU_DEP_3)
	v_or_b32_e32 v40, 0x800000, v64
	v_add_nc_u32_e32 v41, 19, v61
	v_lshlrev_b64_e64 v[118:119], v118, -1
	s_delay_alu instid0(VALU_DEP_3) | instskip(NEXT) | instid1(VALU_DEP_3)
	v_cndmask_b32_e32 v64, v40, v64, vcc_lo
	v_lshlrev_b64_e64 v[40:41], v41, 1
	s_delay_alu instid0(VALU_DEP_3) | instskip(NEXT) | instid1(VALU_DEP_3)
	v_bfi_b32 v63, v119, 0, 0
	v_bfi_b32 v62, v118, 0, v64
	v_lshrrev_b64 v[118:119], v61, v[64:65]
	s_delay_alu instid0(VALU_DEP_2) | instskip(NEXT) | instid1(VALU_DEP_2)
	v_cmp_eq_u64_e64 s7, v[62:63], v[40:41]
	v_mov_b64_e32 v[40:41], v[118:119]
	s_and_saveexec_b32 s20, s7
; %bb.897:                              ;   in Loop: Header=BB4_799 Depth=2
	v_bfe_u32 v64, v118, 20, 1
	s_delay_alu instid0(VALU_DEP_1) | instskip(NEXT) | instid1(VALU_DEP_1)
	v_add_nc_u64_e32 v[40:41], v[118:119], v[64:65]
	v_add_nc_u64_e32 v[40:41], -1, v[40:41]
; %bb.898:                              ;   in Loop: Header=BB4_799 Depth=2
	s_or_b32 exec_lo, exec_lo, s20
	v_add_nc_u32_e32 v64, 0xffffff81, v60
	v_lshrrev_b32_e32 v119, 23, v118
	s_mov_b32 s7, exec_lo
	s_delay_alu instid0(VALU_DEP_2) | instskip(NEXT) | instid1(VALU_DEP_1)
	v_cndmask_b32_e64 v64, v64, 0xffffff82, vcc_lo
	v_add3_u32 v41, v61, v64, v119
	v_and_b32_e32 v64, 0xfffff, v40
                                        ; implicit-def: $vgpr40
	s_delay_alu instid0(VALU_DEP_1) | instskip(NEXT) | instid1(VALU_DEP_1)
	v_dual_add_nc_u32 v60, 6, v41 :: v_dual_add_nc_u32 v64, v64, v118
                                        ; implicit-def: $vgpr118_vgpr119
	v_cmpx_ne_u32_e32 0, v60
	s_xor_b32 s7, exec_lo, s7
; %bb.899:                              ;   in Loop: Header=BB4_799 Depth=2
	s_delay_alu instid0(VALU_DEP_2) | instskip(SKIP_1) | instid1(VALU_DEP_1)
	v_cmp_lt_u64_e32 vcc_lo, 0xffffff, v[64:65]
	v_add_nc_u32_e32 v118, 7, v41
	v_cndmask_b32_e32 v40, v60, v118, vcc_lo
	v_cndmask_b32_e64 v118, 0, 1, vcc_lo
	s_delay_alu instid0(VALU_DEP_1)
	v_lshrrev_b64 v[118:119], v118, v[64:65]
; %bb.900:                              ;   in Loop: Header=BB4_799 Depth=2
	s_and_not1_saveexec_b32 s7, s7
; %bb.901:                              ;   in Loop: Header=BB4_799 Depth=2
	v_mov_b64_e32 v[118:119], v[64:65]
	v_bfe_u32 v40, v64, 23, 1
; %bb.902:                              ;   in Loop: Header=BB4_799 Depth=2
	s_or_b32 exec_lo, exec_lo, s7
	s_delay_alu instid0(VALU_DEP_2) | instskip(NEXT) | instid1(VALU_DEP_2)
	v_lshrrev_b64 v[118:119], 20, v[118:119]
	v_cmp_gt_i32_e32 vcc_lo, 16, v40
	v_min_i32_e32 v64, 15, v40
	v_cmp_eq_u32_e64 s7, 0, v40
	s_delay_alu instid0(VALU_DEP_2) | instskip(SKIP_1) | instid1(VALU_DEP_2)
	v_dual_cndmask_b32 v119, 0, v119 :: v_dual_lshlrev_b32 v64, 3, v64
	v_cndmask_b32_e32 v118, 7, v118, vcc_lo
	v_and_b32_e32 v64, 0xf8, v64
	s_delay_alu instid0(VALU_DEP_2) | instskip(NEXT) | instid1(VALU_DEP_2)
	v_cmp_eq_u64_e32 vcc_lo, 0, v[118:119]
	v_and_or_b32 v64, v118, 7, v64
	s_and_b32 s7, s7, vcc_lo
	s_delay_alu instid0(VALU_DEP_1) | instid1(SALU_CYCLE_1)
	v_cndmask_b32_e64 v64, v64, 0, s7
	s_delay_alu instid0(VALU_DEP_1)
	v_or_b32_e32 v60, v64, v47
.LBB4_903:                              ;   in Loop: Header=BB4_799 Depth=2
	s_or_b32 exec_lo, exec_lo, s19
                                        ; implicit-def: $vgpr47
.LBB4_904:                              ;   in Loop: Header=BB4_799 Depth=2
	s_and_not1_saveexec_b32 s7, s18
; %bb.905:                              ;   in Loop: Header=BB4_799 Depth=2
	v_or_b32_e32 v60, 0x7e, v47
; %bb.906:                              ;   in Loop: Header=BB4_799 Depth=2
	s_or_b32 exec_lo, exec_lo, s7
                                        ; implicit-def: $vgpr119
.LBB4_907:                              ;   in Loop: Header=BB4_799 Depth=2
	s_and_not1_saveexec_b32 s7, s17
; %bb.908:                              ;   in Loop: Header=BB4_799 Depth=2
	v_or_b32_e32 v60, 0x7f, v119
; %bb.909:                              ;   in Loop: Header=BB4_799 Depth=2
	s_or_b32 exec_lo, exec_lo, s7
	v_alignbit_b32 v64, v43, v45, v46
	v_mov_b32_e32 v118, 0
	s_mov_b32 s7, exec_lo
	s_delay_alu instid0(VALU_DEP_2) | instskip(NEXT) | instid1(VALU_DEP_1)
	v_and_b32_e32 v119, 0xff, v64
	v_cmpx_ne_u16_e32 0, v119
	s_cbranch_execz .LBB4_915
; %bb.910:                              ;   in Loop: Header=BB4_799 Depth=2
	v_bfrev_b32_e32 v118, 1
	s_mov_b32 s17, exec_lo
	v_cmpx_ne_u16_e32 0x80, v119
	s_cbranch_execz .LBB4_914
; %bb.911:                              ;   in Loop: Header=BB4_799 Depth=2
	v_and_b32_e32 v119, 0x7f, v64
	v_mov_b32_e32 v118, 0x7f800001
	s_mov_b32 s18, exec_lo
	s_delay_alu instid0(VALU_DEP_2)
	v_cmpx_ne_u32_e32 0x7f, v119
	s_cbranch_execz .LBB4_913
; %bb.912:                              ;   in Loop: Header=BB4_799 Depth=2
	v_dual_lshrrev_b32 v40, 3, v119 :: v_dual_bitop2_b32 v118, 7, v64 bitop3:0x40
	v_cmp_gt_u32_e32 vcc_lo, 8, v119
	s_delay_alu instid0(VALU_DEP_2) | instskip(NEXT) | instid1(VALU_DEP_1)
	v_clz_i32_u32_e32 v118, v118
	v_min_u32_e32 v118, 32, v118
	s_delay_alu instid0(VALU_DEP_1) | instskip(SKIP_1) | instid1(VALU_DEP_1)
	v_subrev_nc_u32_e32 v41, 28, v118
	v_sub_nc_u32_e32 v118, 29, v118
	v_dual_cndmask_b32 v40, v40, v118, vcc_lo :: v_dual_cndmask_b32 v118, 0, v41, vcc_lo
	s_delay_alu instid0(VALU_DEP_1) | instskip(NEXT) | instid1(VALU_DEP_2)
	v_lshl_add_u32 v40, v40, 23, 0x3c000000
	v_lshlrev_b64_e32 v[118:119], v118, v[64:65]
	v_lshlrev_b32_e32 v119, 24, v64
	s_delay_alu instid0(VALU_DEP_1) | instskip(NEXT) | instid1(VALU_DEP_3)
	v_and_b32_e32 v119, 0x80000000, v119
	v_lshlrev_b32_e32 v118, 20, v118
	s_delay_alu instid0(VALU_DEP_1) | instskip(NEXT) | instid1(VALU_DEP_1)
	v_and_b32_e32 v118, 0x700000, v118
	v_or3_b32 v118, v118, v119, v40
.LBB4_913:                              ;   in Loop: Header=BB4_799 Depth=2
	s_or_b32 exec_lo, exec_lo, s18
.LBB4_914:                              ;   in Loop: Header=BB4_799 Depth=2
	s_delay_alu instid0(SALU_CYCLE_1)
	s_or_b32 exec_lo, exec_lo, s17
.LBB4_915:                              ;   in Loop: Header=BB4_799 Depth=2
	s_delay_alu instid0(SALU_CYCLE_1) | instskip(NEXT) | instid1(VALU_DEP_1)
	s_or_b32 exec_lo, exec_lo, s7
	v_dual_mul_f32 v118, v30, v118 :: v_dual_mov_b32 v41, v65
                                        ; implicit-def: $vgpr43
	s_mov_b32 s7, exec_lo
	s_delay_alu instid0(VALU_DEP_1) | instskip(SKIP_1) | instid1(VALU_DEP_2)
	v_and_b32_e32 v40, 0x7f800000, v118
	v_lshrrev_b32_e32 v119, 24, v118
	v_cmpx_ne_u64_e32 0x7f800000, v[40:41]
	s_xor_b32 s17, exec_lo, s7
	s_cbranch_execz .LBB4_929
; %bb.916:                              ;   in Loop: Header=BB4_799 Depth=2
	v_and_b32_e32 v40, 0x7fffffff, v118
	v_mov_b32_e32 v41, v65
	v_and_b32_e32 v45, 0x80, v119
                                        ; implicit-def: $vgpr43
	s_mov_b32 s7, exec_lo
	s_delay_alu instid0(VALU_DEP_2)
	v_cmpx_gt_u64_e32 0x43e00001, v[40:41]
	s_xor_b32 s18, exec_lo, s7
	s_cbranch_execz .LBB4_926
; %bb.917:                              ;   in Loop: Header=BB4_799 Depth=2
	v_mov_b32_e32 v43, 0
	s_mov_b32 s19, exec_lo
	v_cmpx_ne_u32_e32 0, v118
	s_cbranch_execz .LBB4_925
; %bb.918:                              ;   in Loop: Header=BB4_799 Depth=2
	v_bfe_u32 v43, v118, 23, 8
	v_and_b32_e32 v40, 0x7fffff, v118
	s_mov_b32 s20, exec_lo
	s_delay_alu instid0(VALU_DEP_2) | instskip(NEXT) | instid1(VALU_DEP_2)
	v_cmp_gt_u32_e32 vcc_lo, 0x7a, v43
	v_or_b32_e32 v41, 0x800000, v40
	v_sub_nc_u32_e32 v119, 0x79, v43
	s_delay_alu instid0(VALU_DEP_1) | instskip(SKIP_1) | instid1(VALU_DEP_2)
	v_cndmask_b32_e32 v119, 0, v119, vcc_lo
	v_cmp_eq_u32_e32 vcc_lo, 0, v43
	v_cndmask_b32_e64 v46, v119, 0x78, vcc_lo
	v_cndmask_b32_e32 v40, v41, v40, vcc_lo
	s_delay_alu instid0(VALU_DEP_2) | instskip(SKIP_1) | instid1(VALU_DEP_2)
	v_dual_mov_b32 v41, v65 :: v_dual_add_nc_u32 v47, 19, v46
	v_add_nc_u32_e32 v118, 20, v46
	v_lshlrev_b64_e64 v[62:63], v47, 1
	s_delay_alu instid0(VALU_DEP_2) | instskip(NEXT) | instid1(VALU_DEP_1)
	v_lshlrev_b64_e64 v[118:119], v118, -1
	v_bfi_b32 v73, v119, 0, 0
	s_delay_alu instid0(VALU_DEP_2) | instskip(SKIP_1) | instid1(VALU_DEP_1)
	v_bfi_b32 v72, v118, 0, v40
	v_lshrrev_b64 v[118:119], v46, v[40:41]
	v_mov_b64_e32 v[40:41], v[118:119]
	s_delay_alu instid0(VALU_DEP_3)
	v_cmpx_eq_u64_e64 v[72:73], v[62:63]
; %bb.919:                              ;   in Loop: Header=BB4_799 Depth=2
	v_bfe_u32 v40, v118, 20, 1
	v_mov_b32_e32 v41, v65
	s_delay_alu instid0(VALU_DEP_1) | instskip(NEXT) | instid1(VALU_DEP_1)
	v_add_nc_u64_e32 v[40:41], v[118:119], v[40:41]
	v_add_nc_u64_e32 v[40:41], -1, v[40:41]
; %bb.920:                              ;   in Loop: Header=BB4_799 Depth=2
	s_or_b32 exec_lo, exec_lo, s20
	v_add_nc_u32_e32 v119, 0xffffff81, v43
	v_lshrrev_b32_e32 v41, 23, v118
	s_mov_b32 s7, exec_lo
	s_delay_alu instid0(VALU_DEP_2) | instskip(NEXT) | instid1(VALU_DEP_1)
	v_cndmask_b32_e64 v119, v119, 0xffffff82, vcc_lo
	v_add3_u32 v41, v46, v119, v41
	v_and_b32_e32 v119, 0xfffff, v40
                                        ; implicit-def: $vgpr40
	s_delay_alu instid0(VALU_DEP_1) | instskip(SKIP_1) | instid1(VALU_DEP_2)
	v_dual_add_nc_u32 v43, 6, v41 :: v_dual_add_nc_u32 v118, v119, v118
	v_mov_b32_e32 v119, v65
	v_cmpx_ne_u32_e32 0, v43
	s_xor_b32 s7, exec_lo, s7
; %bb.921:                              ;   in Loop: Header=BB4_799 Depth=2
	s_delay_alu instid0(VALU_DEP_2) | instskip(SKIP_2) | instid1(VALU_DEP_2)
	v_cmp_lt_u64_e32 vcc_lo, 0xffffff, v[118:119]
	v_add_nc_u32_e32 v40, 7, v41
	v_cndmask_b32_e64 v41, 0, 1, vcc_lo
	v_cndmask_b32_e32 v40, v43, v40, vcc_lo
	s_delay_alu instid0(VALU_DEP_2)
	v_lshrrev_b64 v[118:119], v41, v[118:119]
; %bb.922:                              ;   in Loop: Header=BB4_799 Depth=2
	s_and_not1_saveexec_b32 s7, s7
; %bb.923:                              ;   in Loop: Header=BB4_799 Depth=2
	s_delay_alu instid0(VALU_DEP_1)
	v_bfe_u32 v40, v118, 23, 1
; %bb.924:                              ;   in Loop: Header=BB4_799 Depth=2
	s_or_b32 exec_lo, exec_lo, s7
	s_delay_alu instid0(VALU_DEP_2) | instskip(NEXT) | instid1(VALU_DEP_2)
	v_lshrrev_b64 v[118:119], 20, v[118:119]
	v_cmp_gt_i32_e32 vcc_lo, 16, v40
	v_min_i32_e32 v41, 15, v40
	v_cmp_eq_u32_e64 s7, 0, v40
	s_delay_alu instid0(VALU_DEP_2) | instskip(SKIP_1) | instid1(VALU_DEP_2)
	v_dual_cndmask_b32 v119, 0, v119, vcc_lo :: v_dual_lshlrev_b32 v41, 3, v41
	v_cndmask_b32_e32 v118, 7, v118, vcc_lo
	v_and_b32_e32 v41, 0xf8, v41
	s_delay_alu instid0(VALU_DEP_2) | instskip(NEXT) | instid1(VALU_DEP_2)
	v_cmp_eq_u64_e32 vcc_lo, 0, v[118:119]
	v_and_or_b32 v118, v118, 7, v41
	s_and_b32 s7, s7, vcc_lo
	s_delay_alu instid0(VALU_DEP_1) | instid1(SALU_CYCLE_1)
	v_cndmask_b32_e64 v118, v118, 0, s7
	s_delay_alu instid0(VALU_DEP_1)
	v_or_b32_e32 v43, v118, v45
.LBB4_925:                              ;   in Loop: Header=BB4_799 Depth=2
	s_or_b32 exec_lo, exec_lo, s19
                                        ; implicit-def: $vgpr45
.LBB4_926:                              ;   in Loop: Header=BB4_799 Depth=2
	s_and_not1_saveexec_b32 s7, s18
; %bb.927:                              ;   in Loop: Header=BB4_799 Depth=2
	v_or_b32_e32 v43, 0x7e, v45
; %bb.928:                              ;   in Loop: Header=BB4_799 Depth=2
	s_or_b32 exec_lo, exec_lo, s7
                                        ; implicit-def: $vgpr119
.LBB4_929:                              ;   in Loop: Header=BB4_799 Depth=2
	s_and_not1_saveexec_b32 s7, s17
; %bb.930:                              ;   in Loop: Header=BB4_799 Depth=2
	v_or_b32_e32 v43, 0x7f, v119
; %bb.931:                              ;   in Loop: Header=BB4_799 Depth=2
	s_or_b32 exec_lo, exec_lo, s7
	v_lshrrev_b16 v119, 8, v64
	v_mov_b32_e32 v118, 0
	s_mov_b32 s7, exec_lo
	s_delay_alu instid0(VALU_DEP_2)
	v_cmpx_ne_u16_e32 0, v119
	s_cbranch_execz .LBB4_939
; %bb.932:                              ;   in Loop: Header=BB4_799 Depth=2
	v_bfrev_b32_e32 v118, 1
	s_mov_b32 s17, exec_lo
	v_cmpx_ne_u16_e32 0x80, v119
	s_cbranch_execz .LBB4_938
; %bb.933:                              ;   in Loop: Header=BB4_799 Depth=2
	v_and_b32_e32 v119, 0xffff, v119
	v_mov_b32_e32 v118, 0x7f800001
	s_mov_b32 s18, exec_lo
	s_delay_alu instid0(VALU_DEP_2) | instskip(NEXT) | instid1(VALU_DEP_1)
	v_and_b32_e32 v41, 0x7f, v119
	v_cmpx_ne_u32_e32 0x7f, v41
	s_cbranch_execz .LBB4_937
; %bb.934:                              ;   in Loop: Header=BB4_799 Depth=2
	v_dual_mov_b32 v119, v65 :: v_dual_bitop2_b32 v118, 7, v119 bitop3:0x40
	v_lshrrev_b32_e32 v40, 3, v41
	s_mov_b32 s19, exec_lo
	v_cmpx_gt_u32_e32 8, v41
; %bb.935:                              ;   in Loop: Header=BB4_799 Depth=2
	s_delay_alu instid0(VALU_DEP_3) | instskip(NEXT) | instid1(VALU_DEP_1)
	v_clz_i32_u32_e32 v40, v118
	v_min_u32_e32 v40, 32, v40
	s_delay_alu instid0(VALU_DEP_1) | instskip(NEXT) | instid1(VALU_DEP_1)
	v_subrev_nc_u32_e32 v41, 28, v40
	v_lshlrev_b64_e32 v[118:119], v41, v[118:119]
	s_delay_alu instid0(VALU_DEP_1)
	v_dual_sub_nc_u32 v40, 29, v40 :: v_dual_bitop2_b32 v118, 7, v118 bitop3:0x40
; %bb.936:                              ;   in Loop: Header=BB4_799 Depth=2
	s_or_b32 exec_lo, exec_lo, s19
	s_delay_alu instid0(VALU_DEP_1) | instskip(NEXT) | instid1(VALU_DEP_2)
	v_dual_lshlrev_b32 v119, 16, v64 :: v_dual_lshlrev_b32 v118, 20, v118
	v_lshl_add_u32 v40, v40, 23, 0x3c000000
	s_delay_alu instid0(VALU_DEP_2) | instskip(NEXT) | instid1(VALU_DEP_1)
	v_and_b32_e32 v119, 0x80000000, v119
	v_or3_b32 v118, v118, v119, v40
.LBB4_937:                              ;   in Loop: Header=BB4_799 Depth=2
	s_or_b32 exec_lo, exec_lo, s18
.LBB4_938:                              ;   in Loop: Header=BB4_799 Depth=2
	s_delay_alu instid0(SALU_CYCLE_1)
	s_or_b32 exec_lo, exec_lo, s17
.LBB4_939:                              ;   in Loop: Header=BB4_799 Depth=2
	s_delay_alu instid0(SALU_CYCLE_1) | instskip(NEXT) | instid1(VALU_DEP_1)
	s_or_b32 exec_lo, exec_lo, s7
	v_dual_mul_f32 v118, v30, v118 :: v_dual_mov_b32 v41, v65
                                        ; implicit-def: $vgpr45
	s_mov_b32 s7, exec_lo
	s_delay_alu instid0(VALU_DEP_1) | instskip(SKIP_1) | instid1(VALU_DEP_2)
	v_and_b32_e32 v40, 0x7f800000, v118
	v_lshrrev_b32_e32 v119, 24, v118
	v_cmpx_ne_u64_e32 0x7f800000, v[40:41]
	s_xor_b32 s17, exec_lo, s7
	s_cbranch_execz .LBB4_953
; %bb.940:                              ;   in Loop: Header=BB4_799 Depth=2
	v_and_b32_e32 v40, 0x7fffffff, v118
	v_mov_b32_e32 v41, v65
	v_and_b32_e32 v46, 0x80, v119
                                        ; implicit-def: $vgpr45
	s_mov_b32 s7, exec_lo
	s_delay_alu instid0(VALU_DEP_2)
	v_cmpx_gt_u64_e32 0x43e00001, v[40:41]
	s_xor_b32 s18, exec_lo, s7
	s_cbranch_execz .LBB4_950
; %bb.941:                              ;   in Loop: Header=BB4_799 Depth=2
	v_mov_b32_e32 v45, 0
	s_mov_b32 s19, exec_lo
	v_cmpx_ne_u32_e32 0, v118
	s_cbranch_execz .LBB4_949
; %bb.942:                              ;   in Loop: Header=BB4_799 Depth=2
	v_bfe_u32 v45, v118, 23, 8
	v_and_b32_e32 v119, 0x7fffff, v118
	s_delay_alu instid0(VALU_DEP_2) | instskip(SKIP_2) | instid1(VALU_DEP_4)
	v_cmp_gt_u32_e64 s7, 0x7a, v45
	v_sub_nc_u32_e32 v118, 0x79, v45
	v_cmp_eq_u32_e32 vcc_lo, 0, v45
	v_or_b32_e32 v40, 0x800000, v119
	s_delay_alu instid0(VALU_DEP_3) | instskip(NEXT) | instid1(VALU_DEP_1)
	v_cndmask_b32_e64 v118, 0, v118, s7
	v_cndmask_b32_e64 v47, v118, 0x78, vcc_lo
	s_delay_alu instid0(VALU_DEP_3) | instskip(NEXT) | instid1(VALU_DEP_2)
	v_dual_cndmask_b32 v118, v40, v119 :: v_dual_mov_b32 v119, v65
	v_dual_add_nc_u32 v40, 20, v47 :: v_dual_add_nc_u32 v61, 19, v47
	s_delay_alu instid0(VALU_DEP_1) | instskip(NEXT) | instid1(VALU_DEP_2)
	v_lshlrev_b64_e64 v[40:41], v40, -1
	v_lshlrev_b64_e64 v[62:63], v61, 1
	s_delay_alu instid0(VALU_DEP_2) | instskip(SKIP_1) | instid1(VALU_DEP_4)
	v_bfi_b32 v40, v40, 0, v118
	v_lshrrev_b64 v[118:119], v47, v[118:119]
	v_bfi_b32 v41, v41, 0, 0
	s_delay_alu instid0(VALU_DEP_1) | instskip(NEXT) | instid1(VALU_DEP_3)
	v_cmp_eq_u64_e64 s7, v[40:41], v[62:63]
	v_mov_b64_e32 v[40:41], v[118:119]
	s_and_saveexec_b32 s20, s7
; %bb.943:                              ;   in Loop: Header=BB4_799 Depth=2
	v_bfe_u32 v40, v118, 20, 1
	v_mov_b32_e32 v41, v65
	s_delay_alu instid0(VALU_DEP_1) | instskip(NEXT) | instid1(VALU_DEP_1)
	v_add_nc_u64_e32 v[40:41], v[118:119], v[40:41]
	v_add_nc_u64_e32 v[40:41], -1, v[40:41]
; %bb.944:                              ;   in Loop: Header=BB4_799 Depth=2
	s_or_b32 exec_lo, exec_lo, s20
	v_add_nc_u32_e32 v119, 0xffffff81, v45
	v_lshrrev_b32_e32 v41, 23, v118
	s_mov_b32 s7, exec_lo
	s_delay_alu instid0(VALU_DEP_2) | instskip(NEXT) | instid1(VALU_DEP_1)
	v_cndmask_b32_e64 v119, v119, 0xffffff82, vcc_lo
	v_add3_u32 v41, v47, v119, v41
	v_and_b32_e32 v119, 0xfffff, v40
                                        ; implicit-def: $vgpr40
	s_delay_alu instid0(VALU_DEP_1) | instskip(SKIP_1) | instid1(VALU_DEP_2)
	v_dual_add_nc_u32 v45, 6, v41 :: v_dual_add_nc_u32 v118, v119, v118
	v_mov_b32_e32 v119, v65
	v_cmpx_ne_u32_e32 0, v45
	s_xor_b32 s7, exec_lo, s7
; %bb.945:                              ;   in Loop: Header=BB4_799 Depth=2
	s_delay_alu instid0(VALU_DEP_2) | instskip(SKIP_2) | instid1(VALU_DEP_2)
	v_cmp_lt_u64_e32 vcc_lo, 0xffffff, v[118:119]
	v_add_nc_u32_e32 v40, 7, v41
	v_cndmask_b32_e64 v41, 0, 1, vcc_lo
	v_cndmask_b32_e32 v40, v45, v40, vcc_lo
	s_delay_alu instid0(VALU_DEP_2)
	v_lshrrev_b64 v[118:119], v41, v[118:119]
; %bb.946:                              ;   in Loop: Header=BB4_799 Depth=2
	s_and_not1_saveexec_b32 s7, s7
; %bb.947:                              ;   in Loop: Header=BB4_799 Depth=2
	s_delay_alu instid0(VALU_DEP_1)
	v_bfe_u32 v40, v118, 23, 1
; %bb.948:                              ;   in Loop: Header=BB4_799 Depth=2
	s_or_b32 exec_lo, exec_lo, s7
	s_delay_alu instid0(VALU_DEP_2) | instskip(NEXT) | instid1(VALU_DEP_2)
	v_lshrrev_b64 v[118:119], 20, v[118:119]
	v_cmp_gt_i32_e32 vcc_lo, 16, v40
	v_min_i32_e32 v41, 15, v40
	v_cmp_eq_u32_e64 s7, 0, v40
	s_delay_alu instid0(VALU_DEP_2) | instskip(SKIP_1) | instid1(VALU_DEP_2)
	v_dual_cndmask_b32 v119, 0, v119, vcc_lo :: v_dual_lshlrev_b32 v41, 3, v41
	v_cndmask_b32_e32 v118, 7, v118, vcc_lo
	v_and_b32_e32 v41, 0xf8, v41
	s_delay_alu instid0(VALU_DEP_2) | instskip(NEXT) | instid1(VALU_DEP_2)
	v_cmp_eq_u64_e32 vcc_lo, 0, v[118:119]
	v_and_or_b32 v118, v118, 7, v41
	s_and_b32 s7, s7, vcc_lo
	s_delay_alu instid0(VALU_DEP_1) | instid1(SALU_CYCLE_1)
	v_cndmask_b32_e64 v118, v118, 0, s7
	s_delay_alu instid0(VALU_DEP_1)
	v_or_b32_e32 v45, v118, v46
.LBB4_949:                              ;   in Loop: Header=BB4_799 Depth=2
	s_or_b32 exec_lo, exec_lo, s19
                                        ; implicit-def: $vgpr46
.LBB4_950:                              ;   in Loop: Header=BB4_799 Depth=2
	s_and_not1_saveexec_b32 s7, s18
; %bb.951:                              ;   in Loop: Header=BB4_799 Depth=2
	v_or_b32_e32 v45, 0x7e, v46
; %bb.952:                              ;   in Loop: Header=BB4_799 Depth=2
	s_or_b32 exec_lo, exec_lo, s7
                                        ; implicit-def: $vgpr119
.LBB4_953:                              ;   in Loop: Header=BB4_799 Depth=2
	s_and_not1_saveexec_b32 s7, s17
; %bb.954:                              ;   in Loop: Header=BB4_799 Depth=2
	v_or_b32_e32 v45, 0x7f, v119
; %bb.955:                              ;   in Loop: Header=BB4_799 Depth=2
	s_or_b32 exec_lo, exec_lo, s7
	v_dual_lshrrev_b32 v40, 16, v64 :: v_dual_mov_b32 v118, 0
	s_mov_b32 s7, exec_lo
	s_delay_alu instid0(VALU_DEP_1) | instskip(NEXT) | instid1(VALU_DEP_1)
	v_and_b32_e32 v119, 0xff, v40
	v_cmpx_ne_u16_e32 0, v119
	s_cbranch_execz .LBB4_963
; %bb.956:                              ;   in Loop: Header=BB4_799 Depth=2
	v_bfrev_b32_e32 v118, 1
	s_mov_b32 s17, exec_lo
	v_cmpx_ne_u16_e32 0x80, v119
	s_cbranch_execz .LBB4_962
; %bb.957:                              ;   in Loop: Header=BB4_799 Depth=2
	v_bfe_u32 v46, v64, 16, 7
	v_mov_b32_e32 v118, 0x7f800001
	s_mov_b32 s18, exec_lo
	s_delay_alu instid0(VALU_DEP_2)
	v_cmpx_ne_u32_e32 0x7f, v46
	s_cbranch_execz .LBB4_961
; %bb.958:                              ;   in Loop: Header=BB4_799 Depth=2
	v_dual_mov_b32 v119, v65 :: v_dual_bitop2_b32 v118, 7, v40 bitop3:0x40
	v_lshrrev_b32_e32 v41, 3, v46
	s_mov_b32 s19, exec_lo
	v_cmpx_gt_u32_e32 8, v46
; %bb.959:                              ;   in Loop: Header=BB4_799 Depth=2
	s_delay_alu instid0(VALU_DEP_3) | instskip(NEXT) | instid1(VALU_DEP_1)
	v_clz_i32_u32_e32 v41, v118
	v_min_u32_e32 v41, 32, v41
	s_delay_alu instid0(VALU_DEP_1) | instskip(NEXT) | instid1(VALU_DEP_1)
	v_subrev_nc_u32_e32 v46, 28, v41
	v_lshlrev_b64_e32 v[118:119], v46, v[118:119]
	s_delay_alu instid0(VALU_DEP_1)
	v_dual_sub_nc_u32 v41, 29, v41 :: v_dual_bitop2_b32 v118, 7, v118 bitop3:0x40
; %bb.960:                              ;   in Loop: Header=BB4_799 Depth=2
	s_or_b32 exec_lo, exec_lo, s19
	s_delay_alu instid0(VALU_DEP_1) | instskip(NEXT) | instid1(VALU_DEP_2)
	v_dual_lshlrev_b32 v119, 24, v40 :: v_dual_lshlrev_b32 v118, 20, v118
	v_lshl_add_u32 v40, v41, 23, 0x3c000000
	s_delay_alu instid0(VALU_DEP_2) | instskip(NEXT) | instid1(VALU_DEP_1)
	v_and_b32_e32 v119, 0x80000000, v119
	v_or3_b32 v118, v118, v119, v40
.LBB4_961:                              ;   in Loop: Header=BB4_799 Depth=2
	s_or_b32 exec_lo, exec_lo, s18
.LBB4_962:                              ;   in Loop: Header=BB4_799 Depth=2
	s_delay_alu instid0(SALU_CYCLE_1)
	s_or_b32 exec_lo, exec_lo, s17
.LBB4_963:                              ;   in Loop: Header=BB4_799 Depth=2
	s_delay_alu instid0(SALU_CYCLE_1) | instskip(NEXT) | instid1(VALU_DEP_1)
	s_or_b32 exec_lo, exec_lo, s7
	v_dual_mul_f32 v118, v30, v118 :: v_dual_mov_b32 v41, v65
                                        ; implicit-def: $vgpr46
	s_mov_b32 s7, exec_lo
	s_delay_alu instid0(VALU_DEP_1) | instskip(SKIP_1) | instid1(VALU_DEP_2)
	v_and_b32_e32 v40, 0x7f800000, v118
	v_lshrrev_b32_e32 v119, 24, v118
	v_cmpx_ne_u64_e32 0x7f800000, v[40:41]
	s_xor_b32 s17, exec_lo, s7
	s_cbranch_execz .LBB4_977
; %bb.964:                              ;   in Loop: Header=BB4_799 Depth=2
	v_and_b32_e32 v40, 0x7fffffff, v118
	v_mov_b32_e32 v41, v65
	v_and_b32_e32 v47, 0x80, v119
                                        ; implicit-def: $vgpr46
	s_mov_b32 s7, exec_lo
	s_delay_alu instid0(VALU_DEP_2)
	v_cmpx_gt_u64_e32 0x43e00001, v[40:41]
	s_xor_b32 s18, exec_lo, s7
	s_cbranch_execz .LBB4_974
; %bb.965:                              ;   in Loop: Header=BB4_799 Depth=2
	v_mov_b32_e32 v46, 0
	s_mov_b32 s19, exec_lo
	v_cmpx_ne_u32_e32 0, v118
	s_cbranch_execz .LBB4_973
; %bb.966:                              ;   in Loop: Header=BB4_799 Depth=2
	v_bfe_u32 v46, v118, 23, 8
	v_and_b32_e32 v40, 0x7fffff, v118
	s_mov_b32 s20, exec_lo
	s_delay_alu instid0(VALU_DEP_2) | instskip(SKIP_1) | instid1(VALU_DEP_3)
	v_cmp_gt_u32_e64 s7, 0x7a, v46
	v_cmp_eq_u32_e32 vcc_lo, 0, v46
	v_or_b32_e32 v41, 0x800000, v40
	s_delay_alu instid0(VALU_DEP_1) | instskip(NEXT) | instid1(VALU_DEP_1)
	v_dual_cndmask_b32 v40, v41, v40 :: v_dual_sub_nc_u32 v119, 0x79, v46
	v_dual_cndmask_b32 v119, 0, v119, s7 :: v_dual_mov_b32 v41, v65
	s_delay_alu instid0(VALU_DEP_1) | instskip(NEXT) | instid1(VALU_DEP_1)
	v_cndmask_b32_e64 v61, v119, 0x78, vcc_lo
	v_dual_add_nc_u32 v118, 20, v61 :: v_dual_add_nc_u32 v62, 19, v61
	s_delay_alu instid0(VALU_DEP_1) | instskip(NEXT) | instid1(VALU_DEP_2)
	v_lshlrev_b64_e64 v[118:119], v118, -1
	v_lshlrev_b64_e64 v[62:63], v62, 1
	s_delay_alu instid0(VALU_DEP_2) | instskip(NEXT) | instid1(VALU_DEP_3)
	v_bfi_b32 v73, v119, 0, 0
	v_bfi_b32 v72, v118, 0, v40
	v_lshrrev_b64 v[118:119], v61, v[40:41]
	s_delay_alu instid0(VALU_DEP_1) | instskip(NEXT) | instid1(VALU_DEP_3)
	v_mov_b64_e32 v[40:41], v[118:119]
	v_cmpx_eq_u64_e64 v[72:73], v[62:63]
; %bb.967:                              ;   in Loop: Header=BB4_799 Depth=2
	v_bfe_u32 v40, v118, 20, 1
	v_mov_b32_e32 v41, v65
	s_delay_alu instid0(VALU_DEP_1) | instskip(NEXT) | instid1(VALU_DEP_1)
	v_add_nc_u64_e32 v[40:41], v[118:119], v[40:41]
	v_add_nc_u64_e32 v[40:41], -1, v[40:41]
; %bb.968:                              ;   in Loop: Header=BB4_799 Depth=2
	s_or_b32 exec_lo, exec_lo, s20
	v_add_nc_u32_e32 v119, 0xffffff81, v46
	v_lshrrev_b32_e32 v41, 23, v118
	s_mov_b32 s7, exec_lo
	s_delay_alu instid0(VALU_DEP_2) | instskip(NEXT) | instid1(VALU_DEP_1)
	v_cndmask_b32_e64 v119, v119, 0xffffff82, vcc_lo
	v_add3_u32 v41, v61, v119, v41
	v_and_b32_e32 v119, 0xfffff, v40
                                        ; implicit-def: $vgpr40
	s_delay_alu instid0(VALU_DEP_1) | instskip(SKIP_1) | instid1(VALU_DEP_2)
	v_dual_add_nc_u32 v46, 6, v41 :: v_dual_add_nc_u32 v118, v119, v118
	v_mov_b32_e32 v119, v65
	v_cmpx_ne_u32_e32 0, v46
	s_xor_b32 s7, exec_lo, s7
; %bb.969:                              ;   in Loop: Header=BB4_799 Depth=2
	s_delay_alu instid0(VALU_DEP_2) | instskip(SKIP_2) | instid1(VALU_DEP_2)
	v_cmp_lt_u64_e32 vcc_lo, 0xffffff, v[118:119]
	v_add_nc_u32_e32 v40, 7, v41
	v_cndmask_b32_e64 v41, 0, 1, vcc_lo
	v_cndmask_b32_e32 v40, v46, v40, vcc_lo
	s_delay_alu instid0(VALU_DEP_2)
	v_lshrrev_b64 v[118:119], v41, v[118:119]
; %bb.970:                              ;   in Loop: Header=BB4_799 Depth=2
	s_and_not1_saveexec_b32 s7, s7
; %bb.971:                              ;   in Loop: Header=BB4_799 Depth=2
	s_delay_alu instid0(VALU_DEP_1)
	v_bfe_u32 v40, v118, 23, 1
; %bb.972:                              ;   in Loop: Header=BB4_799 Depth=2
	s_or_b32 exec_lo, exec_lo, s7
	s_delay_alu instid0(VALU_DEP_2) | instskip(NEXT) | instid1(VALU_DEP_2)
	v_lshrrev_b64 v[118:119], 20, v[118:119]
	v_cmp_gt_i32_e32 vcc_lo, 16, v40
	v_min_i32_e32 v41, 15, v40
	v_cmp_eq_u32_e64 s7, 0, v40
	s_delay_alu instid0(VALU_DEP_2) | instskip(SKIP_1) | instid1(VALU_DEP_2)
	v_dual_cndmask_b32 v119, 0, v119, vcc_lo :: v_dual_lshlrev_b32 v41, 3, v41
	v_cndmask_b32_e32 v118, 7, v118, vcc_lo
	v_and_b32_e32 v41, 0xf8, v41
	s_delay_alu instid0(VALU_DEP_2) | instskip(NEXT) | instid1(VALU_DEP_2)
	v_cmp_eq_u64_e32 vcc_lo, 0, v[118:119]
	v_and_or_b32 v118, v118, 7, v41
	s_and_b32 s7, s7, vcc_lo
	s_delay_alu instid0(VALU_DEP_1) | instid1(SALU_CYCLE_1)
	v_cndmask_b32_e64 v118, v118, 0, s7
	s_delay_alu instid0(VALU_DEP_1)
	v_or_b32_e32 v46, v118, v47
.LBB4_973:                              ;   in Loop: Header=BB4_799 Depth=2
	s_or_b32 exec_lo, exec_lo, s19
                                        ; implicit-def: $vgpr47
.LBB4_974:                              ;   in Loop: Header=BB4_799 Depth=2
	s_and_not1_saveexec_b32 s7, s18
; %bb.975:                              ;   in Loop: Header=BB4_799 Depth=2
	v_or_b32_e32 v46, 0x7e, v47
; %bb.976:                              ;   in Loop: Header=BB4_799 Depth=2
	s_or_b32 exec_lo, exec_lo, s7
                                        ; implicit-def: $vgpr119
.LBB4_977:                              ;   in Loop: Header=BB4_799 Depth=2
	s_and_not1_saveexec_b32 s7, s17
; %bb.978:                              ;   in Loop: Header=BB4_799 Depth=2
	v_or_b32_e32 v46, 0x7f, v119
; %bb.979:                              ;   in Loop: Header=BB4_799 Depth=2
	s_or_b32 exec_lo, exec_lo, s7
	v_mov_b32_e32 v119, 0
	s_mov_b32 s7, exec_lo
	v_cmpx_lt_u32_e32 0xffffff, v64
	s_cbranch_execz .LBB4_987
; %bb.980:                              ;   in Loop: Header=BB4_799 Depth=2
	v_lshrrev_b32_e32 v118, 24, v64
	v_bfrev_b32_e32 v119, 1
	s_mov_b32 s17, exec_lo
	s_delay_alu instid0(VALU_DEP_2)
	v_cmpx_ne_u32_e32 0x80, v118
	s_cbranch_execz .LBB4_986
; %bb.981:                              ;   in Loop: Header=BB4_799 Depth=2
	v_bfe_u32 v40, v64, 24, 7
	v_mov_b32_e32 v119, 0x7f800001
	s_mov_b32 s18, exec_lo
	s_delay_alu instid0(VALU_DEP_2)
	v_cmpx_ne_u32_e32 0x7f, v40
	s_cbranch_execz .LBB4_985
; %bb.982:                              ;   in Loop: Header=BB4_799 Depth=2
	v_dual_lshrrev_b32 v119, 3, v40 :: v_dual_bitop2_b32 v64, 7, v118 bitop3:0x40
	s_mov_b32 s19, exec_lo
	v_cmpx_gt_u32_e32 8, v40
; %bb.983:                              ;   in Loop: Header=BB4_799 Depth=2
	s_delay_alu instid0(VALU_DEP_2) | instskip(NEXT) | instid1(VALU_DEP_1)
	v_clz_i32_u32_e32 v119, v64
	v_min_u32_e32 v119, 32, v119
	s_delay_alu instid0(VALU_DEP_1) | instskip(NEXT) | instid1(VALU_DEP_1)
	v_subrev_nc_u32_e32 v40, 28, v119
	v_lshlrev_b64_e32 v[40:41], v40, v[64:65]
	s_delay_alu instid0(VALU_DEP_1)
	v_dual_sub_nc_u32 v119, 29, v119 :: v_dual_bitop2_b32 v64, 7, v40 bitop3:0x40
; %bb.984:                              ;   in Loop: Header=BB4_799 Depth=2
	s_or_b32 exec_lo, exec_lo, s19
	s_delay_alu instid0(VALU_DEP_1) | instskip(NEXT) | instid1(VALU_DEP_2)
	v_dual_lshlrev_b32 v118, 24, v118 :: v_dual_lshlrev_b32 v64, 20, v64
	v_lshl_add_u32 v119, v119, 23, 0x3c000000
	s_delay_alu instid0(VALU_DEP_2) | instskip(NEXT) | instid1(VALU_DEP_1)
	v_and_b32_e32 v118, 0x80000000, v118
	v_or3_b32 v119, v64, v118, v119
.LBB4_985:                              ;   in Loop: Header=BB4_799 Depth=2
	s_or_b32 exec_lo, exec_lo, s18
.LBB4_986:                              ;   in Loop: Header=BB4_799 Depth=2
	s_delay_alu instid0(SALU_CYCLE_1)
	s_or_b32 exec_lo, exec_lo, s17
.LBB4_987:                              ;   in Loop: Header=BB4_799 Depth=2
	s_delay_alu instid0(SALU_CYCLE_1) | instskip(NEXT) | instid1(VALU_DEP_1)
	s_or_b32 exec_lo, exec_lo, s7
	v_mul_f32_e32 v118, v30, v119
                                        ; implicit-def: $vgpr47
	s_mov_b32 s7, exec_lo
	s_delay_alu instid0(VALU_DEP_1) | instskip(SKIP_1) | instid1(VALU_DEP_2)
	v_and_b32_e32 v64, 0x7f800000, v118
	v_lshrrev_b32_e32 v119, 24, v118
	v_cmpx_ne_u64_e32 0x7f800000, v[64:65]
	s_xor_b32 s17, exec_lo, s7
	s_cbranch_execz .LBB4_1001
; %bb.988:                              ;   in Loop: Header=BB4_799 Depth=2
	v_and_b32_e32 v64, 0x7fffffff, v118
	v_and_b32_e32 v61, 0x80, v119
                                        ; implicit-def: $vgpr47
	s_mov_b32 s7, exec_lo
	s_delay_alu instid0(VALU_DEP_2)
	v_cmpx_gt_u64_e32 0x43e00001, v[64:65]
	s_xor_b32 s18, exec_lo, s7
	s_cbranch_execz .LBB4_998
; %bb.989:                              ;   in Loop: Header=BB4_799 Depth=2
	v_mov_b32_e32 v47, 0
	s_mov_b32 s19, exec_lo
	v_cmpx_ne_u32_e32 0, v118
	s_cbranch_execz .LBB4_997
; %bb.990:                              ;   in Loop: Header=BB4_799 Depth=2
	v_bfe_u32 v47, v118, 23, 8
	s_delay_alu instid0(VALU_DEP_1) | instskip(SKIP_1) | instid1(VALU_DEP_2)
	v_sub_nc_u32_e32 v64, 0x79, v47
	v_cmp_gt_u32_e32 vcc_lo, 0x7a, v47
	v_cndmask_b32_e32 v64, 0, v64, vcc_lo
	v_cmp_eq_u32_e32 vcc_lo, 0, v47
	s_delay_alu instid0(VALU_DEP_2) | instskip(SKIP_1) | instid1(VALU_DEP_2)
	v_cndmask_b32_e64 v62, v64, 0x78, vcc_lo
	v_and_b32_e32 v64, 0x7fffff, v118
	v_add_nc_u32_e32 v118, 20, v62
	s_delay_alu instid0(VALU_DEP_2) | instskip(SKIP_1) | instid1(VALU_DEP_3)
	v_or_b32_e32 v40, 0x800000, v64
	v_add_nc_u32_e32 v41, 19, v62
	v_lshlrev_b64_e64 v[118:119], v118, -1
	s_delay_alu instid0(VALU_DEP_3) | instskip(NEXT) | instid1(VALU_DEP_3)
	v_cndmask_b32_e32 v64, v40, v64, vcc_lo
	v_lshlrev_b64_e64 v[40:41], v41, 1
	s_delay_alu instid0(VALU_DEP_3) | instskip(NEXT) | instid1(VALU_DEP_3)
	v_bfi_b32 v73, v119, 0, 0
	v_bfi_b32 v72, v118, 0, v64
	v_lshrrev_b64 v[118:119], v62, v[64:65]
	s_delay_alu instid0(VALU_DEP_2) | instskip(NEXT) | instid1(VALU_DEP_2)
	v_cmp_eq_u64_e64 s7, v[72:73], v[40:41]
	v_mov_b64_e32 v[40:41], v[118:119]
	s_and_saveexec_b32 s20, s7
; %bb.991:                              ;   in Loop: Header=BB4_799 Depth=2
	v_bfe_u32 v64, v118, 20, 1
	s_delay_alu instid0(VALU_DEP_1) | instskip(NEXT) | instid1(VALU_DEP_1)
	v_add_nc_u64_e32 v[40:41], v[118:119], v[64:65]
	v_add_nc_u64_e32 v[40:41], -1, v[40:41]
; %bb.992:                              ;   in Loop: Header=BB4_799 Depth=2
	s_or_b32 exec_lo, exec_lo, s20
	v_add_nc_u32_e32 v64, 0xffffff81, v47
	v_lshrrev_b32_e32 v119, 23, v118
	s_mov_b32 s7, exec_lo
	s_delay_alu instid0(VALU_DEP_2) | instskip(NEXT) | instid1(VALU_DEP_1)
	v_cndmask_b32_e64 v64, v64, 0xffffff82, vcc_lo
	v_add3_u32 v41, v62, v64, v119
	v_and_b32_e32 v64, 0xfffff, v40
                                        ; implicit-def: $vgpr40
	s_delay_alu instid0(VALU_DEP_1) | instskip(NEXT) | instid1(VALU_DEP_1)
	v_dual_add_nc_u32 v47, 6, v41 :: v_dual_add_nc_u32 v64, v64, v118
                                        ; implicit-def: $vgpr118_vgpr119
	v_cmpx_ne_u32_e32 0, v47
	s_xor_b32 s7, exec_lo, s7
; %bb.993:                              ;   in Loop: Header=BB4_799 Depth=2
	s_delay_alu instid0(VALU_DEP_2) | instskip(SKIP_1) | instid1(VALU_DEP_1)
	v_cmp_lt_u64_e32 vcc_lo, 0xffffff, v[64:65]
	v_add_nc_u32_e32 v118, 7, v41
	v_cndmask_b32_e32 v40, v47, v118, vcc_lo
	v_cndmask_b32_e64 v118, 0, 1, vcc_lo
	s_delay_alu instid0(VALU_DEP_1)
	v_lshrrev_b64 v[118:119], v118, v[64:65]
; %bb.994:                              ;   in Loop: Header=BB4_799 Depth=2
	s_and_not1_saveexec_b32 s7, s7
; %bb.995:                              ;   in Loop: Header=BB4_799 Depth=2
	v_mov_b64_e32 v[118:119], v[64:65]
	v_bfe_u32 v40, v64, 23, 1
; %bb.996:                              ;   in Loop: Header=BB4_799 Depth=2
	s_or_b32 exec_lo, exec_lo, s7
	s_delay_alu instid0(VALU_DEP_2) | instskip(NEXT) | instid1(VALU_DEP_2)
	v_lshrrev_b64 v[118:119], 20, v[118:119]
	v_cmp_gt_i32_e32 vcc_lo, 16, v40
	v_min_i32_e32 v64, 15, v40
	v_cmp_eq_u32_e64 s7, 0, v40
	s_delay_alu instid0(VALU_DEP_2) | instskip(SKIP_1) | instid1(VALU_DEP_2)
	v_dual_cndmask_b32 v119, 0, v119 :: v_dual_lshlrev_b32 v64, 3, v64
	v_cndmask_b32_e32 v118, 7, v118, vcc_lo
	v_and_b32_e32 v64, 0xf8, v64
	s_delay_alu instid0(VALU_DEP_2) | instskip(NEXT) | instid1(VALU_DEP_2)
	v_cmp_eq_u64_e32 vcc_lo, 0, v[118:119]
	v_and_or_b32 v64, v118, 7, v64
	s_and_b32 s7, s7, vcc_lo
	s_delay_alu instid0(VALU_DEP_1) | instid1(SALU_CYCLE_1)
	v_cndmask_b32_e64 v64, v64, 0, s7
	s_delay_alu instid0(VALU_DEP_1)
	v_or_b32_e32 v47, v64, v61
.LBB4_997:                              ;   in Loop: Header=BB4_799 Depth=2
	s_or_b32 exec_lo, exec_lo, s19
                                        ; implicit-def: $vgpr61
.LBB4_998:                              ;   in Loop: Header=BB4_799 Depth=2
	s_and_not1_saveexec_b32 s7, s18
; %bb.999:                              ;   in Loop: Header=BB4_799 Depth=2
	v_or_b32_e32 v47, 0x7e, v61
; %bb.1000:                             ;   in Loop: Header=BB4_799 Depth=2
	s_or_b32 exec_lo, exec_lo, s7
                                        ; implicit-def: $vgpr119
.LBB4_1001:                             ;   in Loop: Header=BB4_799 Depth=2
	s_and_not1_saveexec_b32 s7, s17
; %bb.1002:                             ;   in Loop: Header=BB4_799 Depth=2
	v_or_b32_e32 v47, 0x7f, v119
; %bb.1003:                             ;   in Loop: Header=BB4_799 Depth=2
	s_or_b32 exec_lo, exec_lo, s7
	s_wait_loadcnt 0x0
	v_and_b32_e32 v64, 0xff, v2
	v_dual_mov_b32 v118, 0 :: v_dual_mov_b32 v119, 0
	s_mov_b32 s7, exec_lo
	s_delay_alu instid0(VALU_DEP_2)
	v_cmpx_ne_u16_e32 0, v64
	s_cbranch_execz .LBB4_1009
; %bb.1004:                             ;   in Loop: Header=BB4_799 Depth=2
	v_bfrev_b32_e32 v119, 1
	s_mov_b32 s17, exec_lo
	v_cmpx_ne_u16_e32 0x80, v64
	s_cbranch_execz .LBB4_1008
; %bb.1005:                             ;   in Loop: Header=BB4_799 Depth=2
	v_and_b32_e32 v64, 0x7f, v2
	v_mov_b32_e32 v119, 0x7f800001
	s_mov_b32 s18, exec_lo
	s_delay_alu instid0(VALU_DEP_2)
	v_cmpx_ne_u32_e32 0x7f, v64
	s_cbranch_execz .LBB4_1007
; %bb.1006:                             ;   in Loop: Header=BB4_799 Depth=2
	v_dual_lshrrev_b32 v40, 3, v64 :: v_dual_bitop2_b32 v119, 7, v2 bitop3:0x40
	v_cmp_gt_u32_e32 vcc_lo, 8, v64
	s_delay_alu instid0(VALU_DEP_2) | instskip(NEXT) | instid1(VALU_DEP_1)
	v_clz_i32_u32_e32 v119, v119
	v_min_u32_e32 v119, 32, v119
	s_delay_alu instid0(VALU_DEP_1) | instskip(SKIP_1) | instid1(VALU_DEP_1)
	v_subrev_nc_u32_e32 v41, 28, v119
	v_sub_nc_u32_e32 v119, 29, v119
	v_dual_cndmask_b32 v64, v40, v119 :: v_dual_cndmask_b32 v119, 0, v41
	s_delay_alu instid0(VALU_DEP_1) | instskip(NEXT) | instid1(VALU_DEP_2)
	v_lshl_add_u32 v64, v64, 23, 0x3c000000
	v_lshlrev_b64_e32 v[40:41], v119, v[2:3]
	v_lshlrev_b32_e32 v3, 24, v2
	s_delay_alu instid0(VALU_DEP_1) | instskip(NEXT) | instid1(VALU_DEP_3)
	v_and_b32_e32 v3, 0x80000000, v3
	v_lshlrev_b32_e32 v119, 20, v40
	s_delay_alu instid0(VALU_DEP_1) | instskip(NEXT) | instid1(VALU_DEP_1)
	v_and_b32_e32 v119, 0x700000, v119
	v_or3_b32 v119, v119, v3, v64
.LBB4_1007:                             ;   in Loop: Header=BB4_799 Depth=2
	s_or_b32 exec_lo, exec_lo, s18
.LBB4_1008:                             ;   in Loop: Header=BB4_799 Depth=2
	s_delay_alu instid0(SALU_CYCLE_1)
	s_or_b32 exec_lo, exec_lo, s17
.LBB4_1009:                             ;   in Loop: Header=BB4_799 Depth=2
	s_delay_alu instid0(SALU_CYCLE_1) | instskip(SKIP_3) | instid1(VALU_DEP_1)
	s_or_b32 exec_lo, exec_lo, s7
	v_lshl_or_b32 v3, v44, 8, v117
	v_dual_lshlrev_b32 v64, 16, v59 :: v_dual_lshlrev_b32 v40, 24, v60
	s_mov_b32 s7, exec_lo
	v_or3_b32 v64, v64, v40, v3
	v_cmpx_ne_u32_e32 0, v117
	s_cbranch_execz .LBB4_1015
; %bb.1010:                             ;   in Loop: Header=BB4_799 Depth=2
	v_bfrev_b32_e32 v118, 1
	s_mov_b32 s17, exec_lo
	v_cmpx_ne_u32_e32 0x80, v117
	s_cbranch_execz .LBB4_1014
; %bb.1011:                             ;   in Loop: Header=BB4_799 Depth=2
	v_and_b32_e32 v40, 0x7f, v117
	v_mov_b32_e32 v118, 0x7f800001
	s_mov_b32 s18, exec_lo
	s_delay_alu instid0(VALU_DEP_2)
	v_cmpx_ne_u32_e32 0x7f, v40
	s_cbranch_execz .LBB4_1013
; %bb.1012:                             ;   in Loop: Header=BB4_799 Depth=2
	v_dual_lshrrev_b32 v118, 3, v40 :: v_dual_bitop2_b32 v117, 7, v117 bitop3:0x40
	v_cmp_gt_u32_e32 vcc_lo, 8, v40
	s_delay_alu instid0(VALU_DEP_2) | instskip(NEXT) | instid1(VALU_DEP_1)
	v_clz_i32_u32_e32 v117, v117
	v_min_u32_e32 v117, 32, v117
	s_delay_alu instid0(VALU_DEP_1) | instskip(SKIP_1) | instid1(VALU_DEP_1)
	v_subrev_nc_u32_e32 v41, 28, v117
	v_sub_nc_u32_e32 v117, 29, v117
	v_cndmask_b32_e32 v117, v118, v117, vcc_lo
	s_delay_alu instid0(VALU_DEP_3) | instskip(NEXT) | instid1(VALU_DEP_1)
	v_cndmask_b32_e32 v118, 0, v41, vcc_lo
	v_lshlrev_b64_e32 v[40:41], v118, v[64:65]
	v_lshlrev_b32_e32 v118, 24, v64
	s_delay_alu instid0(VALU_DEP_1) | instskip(NEXT) | instid1(VALU_DEP_3)
	v_and_b32_e32 v118, 0x80000000, v118
	v_lshlrev_b32_e32 v40, 20, v40
	v_lshl_add_u32 v117, v117, 23, 0x3c000000
	s_delay_alu instid0(VALU_DEP_2) | instskip(NEXT) | instid1(VALU_DEP_1)
	v_and_b32_e32 v40, 0x700000, v40
	v_or3_b32 v118, v40, v118, v117
.LBB4_1013:                             ;   in Loop: Header=BB4_799 Depth=2
	s_or_b32 exec_lo, exec_lo, s18
.LBB4_1014:                             ;   in Loop: Header=BB4_799 Depth=2
	s_delay_alu instid0(SALU_CYCLE_1)
	s_or_b32 exec_lo, exec_lo, s17
.LBB4_1015:                             ;   in Loop: Header=BB4_799 Depth=2
	s_delay_alu instid0(SALU_CYCLE_1) | instskip(NEXT) | instid1(VALU_DEP_1)
	s_or_b32 exec_lo, exec_lo, s7
	v_dual_add_f32 v118, v119, v118 :: v_dual_mov_b32 v41, v65
                                        ; implicit-def: $vgpr117
	s_mov_b32 s7, exec_lo
	s_delay_alu instid0(VALU_DEP_1) | instskip(SKIP_1) | instid1(VALU_DEP_2)
	v_and_b32_e32 v40, 0x7f800000, v118
	v_lshrrev_b32_e32 v119, 24, v118
	v_cmpx_ne_u64_e32 0x7f800000, v[40:41]
	s_xor_b32 s17, exec_lo, s7
	s_cbranch_execz .LBB4_1029
; %bb.1016:                             ;   in Loop: Header=BB4_799 Depth=2
	v_and_b32_e32 v40, 0x7fffffff, v118
	v_mov_b32_e32 v41, v65
	v_and_b32_e32 v44, 0x80, v119
                                        ; implicit-def: $vgpr117
	s_mov_b32 s7, exec_lo
	s_delay_alu instid0(VALU_DEP_2)
	v_cmpx_gt_u64_e32 0x43e00001, v[40:41]
	s_xor_b32 s18, exec_lo, s7
	s_cbranch_execz .LBB4_1026
; %bb.1017:                             ;   in Loop: Header=BB4_799 Depth=2
	v_mov_b32_e32 v117, 0
	s_mov_b32 s19, exec_lo
	v_cmpx_ne_u32_e32 0, v118
	s_cbranch_execz .LBB4_1025
; %bb.1018:                             ;   in Loop: Header=BB4_799 Depth=2
	v_bfe_u32 v117, v118, 23, 8
	v_and_b32_e32 v40, 0x7fffff, v118
	s_mov_b32 s20, exec_lo
	s_delay_alu instid0(VALU_DEP_2) | instskip(NEXT) | instid1(VALU_DEP_2)
	v_cmp_gt_u32_e32 vcc_lo, 0x7a, v117
	v_or_b32_e32 v41, 0x800000, v40
	v_sub_nc_u32_e32 v119, 0x79, v117
	s_delay_alu instid0(VALU_DEP_1) | instskip(SKIP_1) | instid1(VALU_DEP_4)
	v_cndmask_b32_e32 v119, 0, v119, vcc_lo
	v_cmp_eq_u32_e32 vcc_lo, 0, v117
	v_cndmask_b32_e32 v40, v41, v40, vcc_lo
	v_mov_b32_e32 v41, v65
	s_delay_alu instid0(VALU_DEP_4) | instskip(NEXT) | instid1(VALU_DEP_1)
	v_cndmask_b32_e64 v59, v119, 0x78, vcc_lo
	v_dual_add_nc_u32 v118, 20, v59 :: v_dual_add_nc_u32 v60, 19, v59
	s_delay_alu instid0(VALU_DEP_1) | instskip(NEXT) | instid1(VALU_DEP_2)
	v_lshlrev_b64_e64 v[118:119], v118, -1
	v_lshlrev_b64_e64 v[60:61], v60, 1
	s_delay_alu instid0(VALU_DEP_2) | instskip(NEXT) | instid1(VALU_DEP_3)
	v_bfi_b32 v63, v119, 0, 0
	v_bfi_b32 v62, v118, 0, v40
	v_lshrrev_b64 v[118:119], v59, v[40:41]
	s_delay_alu instid0(VALU_DEP_1) | instskip(NEXT) | instid1(VALU_DEP_3)
	v_mov_b64_e32 v[40:41], v[118:119]
	v_cmpx_eq_u64_e64 v[62:63], v[60:61]
; %bb.1019:                             ;   in Loop: Header=BB4_799 Depth=2
	v_bfe_u32 v40, v118, 20, 1
	v_mov_b32_e32 v41, v65
	s_delay_alu instid0(VALU_DEP_1) | instskip(NEXT) | instid1(VALU_DEP_1)
	v_add_nc_u64_e32 v[40:41], v[118:119], v[40:41]
	v_add_nc_u64_e32 v[40:41], -1, v[40:41]
; %bb.1020:                             ;   in Loop: Header=BB4_799 Depth=2
	s_or_b32 exec_lo, exec_lo, s20
	v_add_nc_u32_e32 v117, 0xffffff81, v117
	v_lshrrev_b32_e32 v119, 23, v118
	s_mov_b32 s7, exec_lo
	s_delay_alu instid0(VALU_DEP_2) | instskip(NEXT) | instid1(VALU_DEP_1)
	v_cndmask_b32_e64 v117, v117, 0xffffff82, vcc_lo
	v_add3_u32 v41, v59, v117, v119
	v_and_b32_e32 v117, 0xfffff, v40
	s_delay_alu instid0(VALU_DEP_2) | instskip(NEXT) | instid1(VALU_DEP_2)
	v_dual_mov_b32 v119, v65 :: v_dual_add_nc_u32 v40, 6, v41
	v_add_nc_u32_e32 v118, v117, v118
                                        ; implicit-def: $vgpr117
	s_delay_alu instid0(VALU_DEP_2)
	v_cmpx_ne_u32_e32 0, v40
	s_xor_b32 s7, exec_lo, s7
; %bb.1021:                             ;   in Loop: Header=BB4_799 Depth=2
	s_delay_alu instid0(VALU_DEP_2) | instskip(SKIP_1) | instid1(VALU_DEP_1)
	v_cmp_lt_u64_e32 vcc_lo, 0xffffff, v[118:119]
	v_add_nc_u32_e32 v117, 7, v41
	v_cndmask_b32_e32 v117, v40, v117, vcc_lo
	v_cndmask_b32_e64 v40, 0, 1, vcc_lo
	s_delay_alu instid0(VALU_DEP_1)
	v_lshrrev_b64 v[118:119], v40, v[118:119]
; %bb.1022:                             ;   in Loop: Header=BB4_799 Depth=2
	s_and_not1_saveexec_b32 s7, s7
; %bb.1023:                             ;   in Loop: Header=BB4_799 Depth=2
	s_delay_alu instid0(VALU_DEP_1)
	v_bfe_u32 v117, v118, 23, 1
; %bb.1024:                             ;   in Loop: Header=BB4_799 Depth=2
	s_or_b32 exec_lo, exec_lo, s7
	s_delay_alu instid0(VALU_DEP_2) | instskip(NEXT) | instid1(VALU_DEP_2)
	v_lshrrev_b64 v[118:119], 20, v[118:119]
	v_cmp_gt_i32_e32 vcc_lo, 16, v117
	v_min_i32_e32 v40, 15, v117
	v_cmp_eq_u32_e64 s7, 0, v117
	s_delay_alu instid0(VALU_DEP_2) | instskip(SKIP_1) | instid1(VALU_DEP_2)
	v_dual_cndmask_b32 v119, 0, v119 :: v_dual_lshlrev_b32 v40, 3, v40
	v_cndmask_b32_e32 v118, 7, v118, vcc_lo
	v_and_b32_e32 v40, 0xf8, v40
	s_delay_alu instid0(VALU_DEP_2) | instskip(NEXT) | instid1(VALU_DEP_2)
	v_cmp_eq_u64_e32 vcc_lo, 0, v[118:119]
	v_and_or_b32 v117, v118, 7, v40
	s_and_b32 s7, s7, vcc_lo
	s_delay_alu instid0(VALU_DEP_1) | instid1(SALU_CYCLE_1)
	v_cndmask_b32_e64 v117, v117, 0, s7
	s_delay_alu instid0(VALU_DEP_1)
	v_or_b32_e32 v117, v117, v44
.LBB4_1025:                             ;   in Loop: Header=BB4_799 Depth=2
	s_or_b32 exec_lo, exec_lo, s19
                                        ; implicit-def: $vgpr44
.LBB4_1026:                             ;   in Loop: Header=BB4_799 Depth=2
	s_and_not1_saveexec_b32 s7, s18
; %bb.1027:                             ;   in Loop: Header=BB4_799 Depth=2
	v_or_b32_e32 v117, 0x7e, v44
; %bb.1028:                             ;   in Loop: Header=BB4_799 Depth=2
	s_or_b32 exec_lo, exec_lo, s7
                                        ; implicit-def: $vgpr119
.LBB4_1029:                             ;   in Loop: Header=BB4_799 Depth=2
	s_and_not1_saveexec_b32 s7, s17
; %bb.1030:                             ;   in Loop: Header=BB4_799 Depth=2
	v_or_b32_e32 v117, 0x7f, v119
; %bb.1031:                             ;   in Loop: Header=BB4_799 Depth=2
	s_or_b32 exec_lo, exec_lo, s7
	v_lshrrev_b16 v118, 8, v2
	v_dual_mov_b32 v40, 0 :: v_dual_mov_b32 v41, 0
	s_mov_b32 s7, exec_lo
	s_delay_alu instid0(VALU_DEP_2)
	v_cmpx_ne_u16_e32 0, v118
	s_cbranch_execz .LBB4_1039
; %bb.1032:                             ;   in Loop: Header=BB4_799 Depth=2
	v_bfrev_b32_e32 v41, 1
	s_mov_b32 s17, exec_lo
	v_cmpx_ne_u16_e32 0x80, v118
	s_cbranch_execz .LBB4_1038
; %bb.1033:                             ;   in Loop: Header=BB4_799 Depth=2
	v_and_b32_e32 v118, 0xffff, v118
	v_mov_b32_e32 v41, 0x7f800001
	s_mov_b32 s18, exec_lo
	s_delay_alu instid0(VALU_DEP_2) | instskip(NEXT) | instid1(VALU_DEP_1)
	v_and_b32_e32 v44, 0x7f, v118
	v_cmpx_ne_u32_e32 0x7f, v44
	s_cbranch_execz .LBB4_1037
; %bb.1034:                             ;   in Loop: Header=BB4_799 Depth=2
	v_dual_mov_b32 v119, v65 :: v_dual_bitop2_b32 v118, 7, v118 bitop3:0x40
	v_lshrrev_b32_e32 v41, 3, v44
	s_mov_b32 s19, exec_lo
	v_cmpx_gt_u32_e32 8, v44
; %bb.1035:                             ;   in Loop: Header=BB4_799 Depth=2
	s_delay_alu instid0(VALU_DEP_3) | instskip(NEXT) | instid1(VALU_DEP_1)
	v_clz_i32_u32_e32 v41, v118
	v_min_u32_e32 v41, 32, v41
	s_delay_alu instid0(VALU_DEP_1) | instskip(NEXT) | instid1(VALU_DEP_1)
	v_subrev_nc_u32_e32 v44, 28, v41
	v_lshlrev_b64_e32 v[118:119], v44, v[118:119]
	s_delay_alu instid0(VALU_DEP_1)
	v_dual_sub_nc_u32 v41, 29, v41 :: v_dual_bitop2_b32 v118, 7, v118 bitop3:0x40
; %bb.1036:                             ;   in Loop: Header=BB4_799 Depth=2
	s_or_b32 exec_lo, exec_lo, s19
	v_lshlrev_b32_e32 v119, 16, v2
	s_delay_alu instid0(VALU_DEP_2) | instskip(NEXT) | instid1(VALU_DEP_3)
	v_lshlrev_b32_e32 v118, 20, v118
	v_lshl_add_u32 v41, v41, 23, 0x3c000000
	s_delay_alu instid0(VALU_DEP_3) | instskip(NEXT) | instid1(VALU_DEP_1)
	v_and_b32_e32 v119, 0x80000000, v119
	v_or3_b32 v41, v118, v119, v41
.LBB4_1037:                             ;   in Loop: Header=BB4_799 Depth=2
	s_or_b32 exec_lo, exec_lo, s18
.LBB4_1038:                             ;   in Loop: Header=BB4_799 Depth=2
	s_delay_alu instid0(SALU_CYCLE_1)
	s_or_b32 exec_lo, exec_lo, s17
.LBB4_1039:                             ;   in Loop: Header=BB4_799 Depth=2
	s_delay_alu instid0(SALU_CYCLE_1) | instskip(SKIP_2) | instid1(VALU_DEP_1)
	s_or_b32 exec_lo, exec_lo, s7
	v_lshrrev_b16 v118, 8, v3
	s_mov_b32 s7, exec_lo
	v_cmpx_ne_u16_e32 0, v118
	s_cbranch_execz .LBB4_1047
; %bb.1040:                             ;   in Loop: Header=BB4_799 Depth=2
	v_bfrev_b32_e32 v40, 1
	s_mov_b32 s17, exec_lo
	v_cmpx_ne_u16_e32 0x80, v118
	s_cbranch_execz .LBB4_1046
; %bb.1041:                             ;   in Loop: Header=BB4_799 Depth=2
	v_and_b32_e32 v118, 0xffff, v118
	v_mov_b32_e32 v40, 0x7f800001
	s_mov_b32 s18, exec_lo
	s_delay_alu instid0(VALU_DEP_2) | instskip(NEXT) | instid1(VALU_DEP_1)
	v_and_b32_e32 v44, 0x7f, v118
	v_cmpx_ne_u32_e32 0x7f, v44
	s_cbranch_execz .LBB4_1045
; %bb.1042:                             ;   in Loop: Header=BB4_799 Depth=2
	v_dual_mov_b32 v119, v65 :: v_dual_bitop2_b32 v118, 7, v118 bitop3:0x40
	v_lshrrev_b32_e32 v40, 3, v44
	s_mov_b32 s19, exec_lo
	v_cmpx_gt_u32_e32 8, v44
; %bb.1043:                             ;   in Loop: Header=BB4_799 Depth=2
	s_delay_alu instid0(VALU_DEP_3) | instskip(NEXT) | instid1(VALU_DEP_1)
	v_clz_i32_u32_e32 v40, v118
	v_min_u32_e32 v40, 32, v40
	s_delay_alu instid0(VALU_DEP_1) | instskip(NEXT) | instid1(VALU_DEP_1)
	v_subrev_nc_u32_e32 v44, 28, v40
	v_lshlrev_b64_e32 v[118:119], v44, v[118:119]
	s_delay_alu instid0(VALU_DEP_1)
	v_dual_sub_nc_u32 v40, 29, v40 :: v_dual_bitop2_b32 v118, 7, v118 bitop3:0x40
; %bb.1044:                             ;   in Loop: Header=BB4_799 Depth=2
	s_or_b32 exec_lo, exec_lo, s19
	s_delay_alu instid0(VALU_DEP_1) | instskip(NEXT) | instid1(VALU_DEP_2)
	v_dual_lshlrev_b32 v3, 16, v3 :: v_dual_lshlrev_b32 v118, 20, v118
	v_lshl_add_u32 v119, v40, 23, 0x3c000000
	s_delay_alu instid0(VALU_DEP_2) | instskip(NEXT) | instid1(VALU_DEP_1)
	v_and_b32_e32 v3, 0x80000000, v3
	v_or3_b32 v40, v118, v3, v119
.LBB4_1045:                             ;   in Loop: Header=BB4_799 Depth=2
	s_or_b32 exec_lo, exec_lo, s18
.LBB4_1046:                             ;   in Loop: Header=BB4_799 Depth=2
	s_delay_alu instid0(SALU_CYCLE_1)
	s_or_b32 exec_lo, exec_lo, s17
.LBB4_1047:                             ;   in Loop: Header=BB4_799 Depth=2
	s_delay_alu instid0(SALU_CYCLE_1) | instskip(NEXT) | instid1(VALU_DEP_1)
	s_or_b32 exec_lo, exec_lo, s7
	v_add_f32_e32 v118, v41, v40
	v_mov_b32_e32 v41, v65
                                        ; implicit-def: $vgpr44
	s_mov_b32 s7, exec_lo
	s_delay_alu instid0(VALU_DEP_2) | instskip(SKIP_1) | instid1(VALU_DEP_2)
	v_and_b32_e32 v40, 0x7f800000, v118
	v_lshrrev_b32_e32 v3, 24, v118
	v_cmpx_ne_u64_e32 0x7f800000, v[40:41]
	s_xor_b32 s17, exec_lo, s7
	s_cbranch_execz .LBB4_1061
; %bb.1048:                             ;   in Loop: Header=BB4_799 Depth=2
	v_and_b32_e32 v40, 0x7fffffff, v118
	v_mov_b32_e32 v41, v65
	v_and_b32_e32 v3, 0x80, v3
                                        ; implicit-def: $vgpr44
	s_mov_b32 s7, exec_lo
	s_delay_alu instid0(VALU_DEP_2)
	v_cmpx_gt_u64_e32 0x43e00001, v[40:41]
	s_xor_b32 s18, exec_lo, s7
	s_cbranch_execz .LBB4_1058
; %bb.1049:                             ;   in Loop: Header=BB4_799 Depth=2
	v_mov_b32_e32 v44, 0
	s_mov_b32 s19, exec_lo
	v_cmpx_ne_u32_e32 0, v118
	s_cbranch_execz .LBB4_1057
; %bb.1050:                             ;   in Loop: Header=BB4_799 Depth=2
	v_bfe_u32 v44, v118, 23, 8
	v_and_b32_e32 v40, 0x7fffff, v118
	s_mov_b32 s20, exec_lo
	s_delay_alu instid0(VALU_DEP_2) | instskip(SKIP_1) | instid1(VALU_DEP_3)
	v_sub_nc_u32_e32 v119, 0x79, v44
	v_cmp_gt_u32_e32 vcc_lo, 0x7a, v44
	v_or_b32_e32 v41, 0x800000, v40
	s_delay_alu instid0(VALU_DEP_3) | instskip(SKIP_1) | instid1(VALU_DEP_3)
	v_cndmask_b32_e32 v119, 0, v119, vcc_lo
	v_cmp_eq_u32_e32 vcc_lo, 0, v44
	v_cndmask_b32_e32 v40, v41, v40, vcc_lo
	s_delay_alu instid0(VALU_DEP_3) | instskip(NEXT) | instid1(VALU_DEP_1)
	v_cndmask_b32_e64 v59, v119, 0x78, vcc_lo
	v_dual_mov_b32 v41, v65 :: v_dual_add_nc_u32 v118, 20, v59
	v_add_nc_u32_e32 v60, 19, v59
	s_delay_alu instid0(VALU_DEP_2) | instskip(NEXT) | instid1(VALU_DEP_2)
	v_lshlrev_b64_e64 v[118:119], v118, -1
	v_lshlrev_b64_e64 v[60:61], v60, 1
	s_delay_alu instid0(VALU_DEP_2) | instskip(NEXT) | instid1(VALU_DEP_3)
	v_bfi_b32 v63, v119, 0, 0
	v_bfi_b32 v62, v118, 0, v40
	v_lshrrev_b64 v[118:119], v59, v[40:41]
	s_delay_alu instid0(VALU_DEP_1) | instskip(NEXT) | instid1(VALU_DEP_3)
	v_mov_b64_e32 v[40:41], v[118:119]
	v_cmpx_eq_u64_e64 v[62:63], v[60:61]
; %bb.1051:                             ;   in Loop: Header=BB4_799 Depth=2
	v_bfe_u32 v40, v118, 20, 1
	v_mov_b32_e32 v41, v65
	s_delay_alu instid0(VALU_DEP_1) | instskip(NEXT) | instid1(VALU_DEP_1)
	v_add_nc_u64_e32 v[40:41], v[118:119], v[40:41]
	v_add_nc_u64_e32 v[40:41], -1, v[40:41]
; %bb.1052:                             ;   in Loop: Header=BB4_799 Depth=2
	s_or_b32 exec_lo, exec_lo, s20
	v_add_nc_u32_e32 v119, 0xffffff81, v44
	v_lshrrev_b32_e32 v41, 23, v118
	s_mov_b32 s7, exec_lo
	s_delay_alu instid0(VALU_DEP_2) | instskip(NEXT) | instid1(VALU_DEP_1)
	v_cndmask_b32_e64 v119, v119, 0xffffff82, vcc_lo
	v_add3_u32 v41, v59, v119, v41
	v_and_b32_e32 v119, 0xfffff, v40
                                        ; implicit-def: $vgpr40
	s_delay_alu instid0(VALU_DEP_1) | instskip(SKIP_1) | instid1(VALU_DEP_2)
	v_dual_add_nc_u32 v44, 6, v41 :: v_dual_add_nc_u32 v118, v119, v118
	v_mov_b32_e32 v119, v65
	v_cmpx_ne_u32_e32 0, v44
	s_xor_b32 s7, exec_lo, s7
; %bb.1053:                             ;   in Loop: Header=BB4_799 Depth=2
	s_delay_alu instid0(VALU_DEP_2) | instskip(SKIP_2) | instid1(VALU_DEP_2)
	v_cmp_lt_u64_e32 vcc_lo, 0xffffff, v[118:119]
	v_add_nc_u32_e32 v40, 7, v41
	v_cndmask_b32_e64 v41, 0, 1, vcc_lo
	v_cndmask_b32_e32 v40, v44, v40, vcc_lo
	s_delay_alu instid0(VALU_DEP_2)
	v_lshrrev_b64 v[118:119], v41, v[118:119]
; %bb.1054:                             ;   in Loop: Header=BB4_799 Depth=2
	s_and_not1_saveexec_b32 s7, s7
; %bb.1055:                             ;   in Loop: Header=BB4_799 Depth=2
	s_delay_alu instid0(VALU_DEP_1)
	v_bfe_u32 v40, v118, 23, 1
; %bb.1056:                             ;   in Loop: Header=BB4_799 Depth=2
	s_or_b32 exec_lo, exec_lo, s7
	s_delay_alu instid0(VALU_DEP_2) | instskip(NEXT) | instid1(VALU_DEP_2)
	v_lshrrev_b64 v[118:119], 20, v[118:119]
	v_cmp_gt_i32_e32 vcc_lo, 16, v40
	v_min_i32_e32 v41, 15, v40
	v_cmp_eq_u32_e64 s7, 0, v40
	s_delay_alu instid0(VALU_DEP_2) | instskip(SKIP_1) | instid1(VALU_DEP_2)
	v_dual_cndmask_b32 v119, 0, v119, vcc_lo :: v_dual_lshlrev_b32 v41, 3, v41
	v_cndmask_b32_e32 v118, 7, v118, vcc_lo
	v_and_b32_e32 v41, 0xf8, v41
	s_delay_alu instid0(VALU_DEP_2) | instskip(NEXT) | instid1(VALU_DEP_2)
	v_cmp_eq_u64_e32 vcc_lo, 0, v[118:119]
	v_and_or_b32 v118, v118, 7, v41
	s_and_b32 s7, s7, vcc_lo
	s_delay_alu instid0(VALU_DEP_1) | instid1(SALU_CYCLE_1)
	v_cndmask_b32_e64 v118, v118, 0, s7
	s_delay_alu instid0(VALU_DEP_1)
	v_or_b32_e32 v44, v118, v3
.LBB4_1057:                             ;   in Loop: Header=BB4_799 Depth=2
	s_or_b32 exec_lo, exec_lo, s19
                                        ; implicit-def: $vgpr3
.LBB4_1058:                             ;   in Loop: Header=BB4_799 Depth=2
	s_and_not1_saveexec_b32 s7, s18
; %bb.1059:                             ;   in Loop: Header=BB4_799 Depth=2
	v_or_b32_e32 v44, 0x7e, v3
; %bb.1060:                             ;   in Loop: Header=BB4_799 Depth=2
	s_or_b32 exec_lo, exec_lo, s7
                                        ; implicit-def: $vgpr3
.LBB4_1061:                             ;   in Loop: Header=BB4_799 Depth=2
	s_and_not1_saveexec_b32 s7, s17
; %bb.1062:                             ;   in Loop: Header=BB4_799 Depth=2
	v_or_b32_e32 v44, 0x7f, v3
; %bb.1063:                             ;   in Loop: Header=BB4_799 Depth=2
	s_or_b32 exec_lo, exec_lo, s7
	v_dual_lshrrev_b32 v41, 16, v2 :: v_dual_mov_b32 v3, 0
	v_mov_b32_e32 v40, 0
	s_mov_b32 s7, exec_lo
	s_delay_alu instid0(VALU_DEP_2) | instskip(NEXT) | instid1(VALU_DEP_1)
	v_and_b32_e32 v118, 0xff, v41
	v_cmpx_ne_u16_e32 0, v118
	s_cbranch_execz .LBB4_1071
; %bb.1064:                             ;   in Loop: Header=BB4_799 Depth=2
	v_bfrev_b32_e32 v40, 1
	s_mov_b32 s17, exec_lo
	v_cmpx_ne_u16_e32 0x80, v118
	s_cbranch_execz .LBB4_1070
; %bb.1065:                             ;   in Loop: Header=BB4_799 Depth=2
	v_bfe_u32 v59, v2, 16, 7
	v_mov_b32_e32 v40, 0x7f800001
	s_mov_b32 s18, exec_lo
	s_delay_alu instid0(VALU_DEP_2)
	v_cmpx_ne_u32_e32 0x7f, v59
	s_cbranch_execz .LBB4_1069
; %bb.1066:                             ;   in Loop: Header=BB4_799 Depth=2
	v_dual_mov_b32 v119, v65 :: v_dual_bitop2_b32 v118, 7, v41 bitop3:0x40
	v_lshrrev_b32_e32 v40, 3, v59
	s_mov_b32 s19, exec_lo
	v_cmpx_gt_u32_e32 8, v59
; %bb.1067:                             ;   in Loop: Header=BB4_799 Depth=2
	s_delay_alu instid0(VALU_DEP_3) | instskip(NEXT) | instid1(VALU_DEP_1)
	v_clz_i32_u32_e32 v40, v118
	v_min_u32_e32 v40, 32, v40
	s_delay_alu instid0(VALU_DEP_1) | instskip(NEXT) | instid1(VALU_DEP_1)
	v_subrev_nc_u32_e32 v59, 28, v40
	v_lshlrev_b64_e32 v[118:119], v59, v[118:119]
	s_delay_alu instid0(VALU_DEP_1)
	v_dual_sub_nc_u32 v40, 29, v40 :: v_dual_bitop2_b32 v118, 7, v118 bitop3:0x40
; %bb.1068:                             ;   in Loop: Header=BB4_799 Depth=2
	s_or_b32 exec_lo, exec_lo, s19
	s_delay_alu instid0(VALU_DEP_1) | instskip(NEXT) | instid1(VALU_DEP_2)
	v_dual_lshlrev_b32 v119, 24, v41 :: v_dual_lshlrev_b32 v118, 20, v118
	v_lshl_add_u32 v40, v40, 23, 0x3c000000
	s_delay_alu instid0(VALU_DEP_2) | instskip(NEXT) | instid1(VALU_DEP_1)
	v_and_b32_e32 v119, 0x80000000, v119
	v_or3_b32 v40, v118, v119, v40
.LBB4_1069:                             ;   in Loop: Header=BB4_799 Depth=2
	s_or_b32 exec_lo, exec_lo, s18
.LBB4_1070:                             ;   in Loop: Header=BB4_799 Depth=2
	s_delay_alu instid0(SALU_CYCLE_1)
	s_or_b32 exec_lo, exec_lo, s17
.LBB4_1071:                             ;   in Loop: Header=BB4_799 Depth=2
	s_delay_alu instid0(SALU_CYCLE_1) | instskip(SKIP_2) | instid1(VALU_DEP_1)
	s_or_b32 exec_lo, exec_lo, s7
	v_lshrrev_b32_e32 v118, 16, v64
	s_mov_b32 s7, exec_lo
	v_and_b32_e32 v119, 0xff, v118
	s_delay_alu instid0(VALU_DEP_1)
	v_cmpx_ne_u16_e32 0, v119
	s_cbranch_execz .LBB4_1079
; %bb.1072:                             ;   in Loop: Header=BB4_799 Depth=2
	v_bfrev_b32_e32 v3, 1
	s_mov_b32 s17, exec_lo
	v_cmpx_ne_u16_e32 0x80, v119
	s_cbranch_execz .LBB4_1078
; %bb.1073:                             ;   in Loop: Header=BB4_799 Depth=2
	v_bfe_u32 v41, v64, 16, 7
	v_mov_b32_e32 v3, 0x7f800001
	s_mov_b32 s18, exec_lo
	s_delay_alu instid0(VALU_DEP_2)
	v_cmpx_ne_u32_e32 0x7f, v41
	s_cbranch_execz .LBB4_1077
; %bb.1074:                             ;   in Loop: Header=BB4_799 Depth=2
	v_dual_mov_b32 v119, v65 :: v_dual_bitop2_b32 v118, 7, v118 bitop3:0x40
	v_lshrrev_b32_e32 v3, 3, v41
	s_mov_b32 s19, exec_lo
	v_cmpx_gt_u32_e32 8, v41
; %bb.1075:                             ;   in Loop: Header=BB4_799 Depth=2
	s_delay_alu instid0(VALU_DEP_3) | instskip(NEXT) | instid1(VALU_DEP_1)
	v_clz_i32_u32_e32 v3, v118
	v_min_u32_e32 v3, 32, v3
	s_delay_alu instid0(VALU_DEP_1) | instskip(NEXT) | instid1(VALU_DEP_1)
	v_subrev_nc_u32_e32 v41, 28, v3
	v_lshlrev_b64_e32 v[118:119], v41, v[118:119]
	s_delay_alu instid0(VALU_DEP_1)
	v_dual_sub_nc_u32 v3, 29, v3 :: v_dual_bitop2_b32 v118, 7, v118 bitop3:0x40
; %bb.1076:                             ;   in Loop: Header=BB4_799 Depth=2
	s_or_b32 exec_lo, exec_lo, s19
	s_delay_alu instid0(VALU_DEP_1) | instskip(NEXT) | instid1(VALU_DEP_2)
	v_dual_lshlrev_b32 v119, 8, v64 :: v_dual_lshlrev_b32 v118, 20, v118
	v_lshl_add_u32 v3, v3, 23, 0x3c000000
	s_delay_alu instid0(VALU_DEP_2) | instskip(NEXT) | instid1(VALU_DEP_1)
	v_and_b32_e32 v119, 0x80000000, v119
	v_or3_b32 v3, v118, v119, v3
.LBB4_1077:                             ;   in Loop: Header=BB4_799 Depth=2
	s_or_b32 exec_lo, exec_lo, s18
.LBB4_1078:                             ;   in Loop: Header=BB4_799 Depth=2
	s_delay_alu instid0(SALU_CYCLE_1)
	s_or_b32 exec_lo, exec_lo, s17
.LBB4_1079:                             ;   in Loop: Header=BB4_799 Depth=2
	s_delay_alu instid0(SALU_CYCLE_1) | instskip(NEXT) | instid1(VALU_DEP_1)
	s_or_b32 exec_lo, exec_lo, s7
	v_dual_add_f32 v118, v40, v3 :: v_dual_mov_b32 v41, v65
	s_delay_alu instid0(VALU_DEP_1) | instskip(SKIP_1) | instid1(VALU_DEP_2)
	v_and_b32_e32 v40, 0x7f800000, v118
	v_lshrrev_b32_e32 v3, 24, v118
	v_cmp_ne_u64_e32 vcc_lo, 0x7f800000, v[40:41]
                                        ; implicit-def: $vgpr40
	s_and_saveexec_b32 s7, vcc_lo
	s_delay_alu instid0(SALU_CYCLE_1)
	s_xor_b32 s17, exec_lo, s7
	s_cbranch_execz .LBB4_1093
; %bb.1080:                             ;   in Loop: Header=BB4_799 Depth=2
	v_and_b32_e32 v40, 0x7fffffff, v118
	v_mov_b32_e32 v41, v65
	v_and_b32_e32 v3, 0x80, v3
	s_delay_alu instid0(VALU_DEP_2) | instskip(SKIP_1) | instid1(SALU_CYCLE_1)
	v_cmp_gt_u64_e32 vcc_lo, 0x43e00001, v[40:41]
                                        ; implicit-def: $vgpr40
	s_and_saveexec_b32 s7, vcc_lo
	s_xor_b32 s18, exec_lo, s7
	s_cbranch_execz .LBB4_1090
; %bb.1081:                             ;   in Loop: Header=BB4_799 Depth=2
	v_mov_b32_e32 v40, 0
	s_mov_b32 s19, exec_lo
	v_cmpx_ne_u32_e32 0, v118
	s_cbranch_execz .LBB4_1089
; %bb.1082:                             ;   in Loop: Header=BB4_799 Depth=2
	v_bfe_u32 v59, v118, 23, 8
	v_and_b32_e32 v40, 0x7fffff, v118
	s_mov_b32 s20, exec_lo
	s_delay_alu instid0(VALU_DEP_2) | instskip(NEXT) | instid1(VALU_DEP_2)
	v_cmp_gt_u32_e32 vcc_lo, 0x7a, v59
	v_or_b32_e32 v41, 0x800000, v40
	v_sub_nc_u32_e32 v119, 0x79, v59
	s_delay_alu instid0(VALU_DEP_1) | instskip(SKIP_1) | instid1(VALU_DEP_2)
	v_cndmask_b32_e32 v119, 0, v119, vcc_lo
	v_cmp_eq_u32_e32 vcc_lo, 0, v59
	v_cndmask_b32_e64 v60, v119, 0x78, vcc_lo
	v_cndmask_b32_e32 v40, v41, v40, vcc_lo
	s_delay_alu instid0(VALU_DEP_2) | instskip(SKIP_1) | instid1(VALU_DEP_2)
	v_dual_mov_b32 v41, v65 :: v_dual_add_nc_u32 v61, 19, v60
	v_add_nc_u32_e32 v118, 20, v60
	v_lshlrev_b64_e64 v[62:63], v61, 1
	s_delay_alu instid0(VALU_DEP_2) | instskip(NEXT) | instid1(VALU_DEP_1)
	v_lshlrev_b64_e64 v[118:119], v118, -1
	v_bfi_b32 v73, v119, 0, 0
	s_delay_alu instid0(VALU_DEP_2) | instskip(SKIP_1) | instid1(VALU_DEP_1)
	v_bfi_b32 v72, v118, 0, v40
	v_lshrrev_b64 v[118:119], v60, v[40:41]
	v_mov_b64_e32 v[40:41], v[118:119]
	s_delay_alu instid0(VALU_DEP_3)
	v_cmpx_eq_u64_e64 v[72:73], v[62:63]
; %bb.1083:                             ;   in Loop: Header=BB4_799 Depth=2
	v_bfe_u32 v40, v118, 20, 1
	v_mov_b32_e32 v41, v65
	s_delay_alu instid0(VALU_DEP_1) | instskip(NEXT) | instid1(VALU_DEP_1)
	v_add_nc_u64_e32 v[40:41], v[118:119], v[40:41]
	v_add_nc_u64_e32 v[40:41], -1, v[40:41]
; %bb.1084:                             ;   in Loop: Header=BB4_799 Depth=2
	s_or_b32 exec_lo, exec_lo, s20
	v_add_nc_u32_e32 v119, 0xffffff81, v59
	v_lshrrev_b32_e32 v41, 23, v118
	s_mov_b32 s7, exec_lo
	s_delay_alu instid0(VALU_DEP_2) | instskip(NEXT) | instid1(VALU_DEP_1)
	v_cndmask_b32_e64 v119, v119, 0xffffff82, vcc_lo
	v_add3_u32 v41, v60, v119, v41
	v_and_b32_e32 v119, 0xfffff, v40
                                        ; implicit-def: $vgpr40
	s_delay_alu instid0(VALU_DEP_1) | instskip(SKIP_1) | instid1(VALU_DEP_2)
	v_dual_add_nc_u32 v59, 6, v41 :: v_dual_add_nc_u32 v118, v119, v118
	v_mov_b32_e32 v119, v65
	v_cmpx_ne_u32_e32 0, v59
	s_xor_b32 s7, exec_lo, s7
; %bb.1085:                             ;   in Loop: Header=BB4_799 Depth=2
	s_delay_alu instid0(VALU_DEP_2) | instskip(SKIP_2) | instid1(VALU_DEP_2)
	v_cmp_lt_u64_e32 vcc_lo, 0xffffff, v[118:119]
	v_add_nc_u32_e32 v40, 7, v41
	v_cndmask_b32_e64 v41, 0, 1, vcc_lo
	v_cndmask_b32_e32 v40, v59, v40, vcc_lo
	s_delay_alu instid0(VALU_DEP_2)
	v_lshrrev_b64 v[118:119], v41, v[118:119]
; %bb.1086:                             ;   in Loop: Header=BB4_799 Depth=2
	s_and_not1_saveexec_b32 s7, s7
; %bb.1087:                             ;   in Loop: Header=BB4_799 Depth=2
	s_delay_alu instid0(VALU_DEP_1)
	v_bfe_u32 v40, v118, 23, 1
; %bb.1088:                             ;   in Loop: Header=BB4_799 Depth=2
	s_or_b32 exec_lo, exec_lo, s7
	s_delay_alu instid0(VALU_DEP_2) | instskip(NEXT) | instid1(VALU_DEP_2)
	v_lshrrev_b64 v[118:119], 20, v[118:119]
	v_cmp_gt_i32_e32 vcc_lo, 16, v40
	v_min_i32_e32 v41, 15, v40
	v_cmp_eq_u32_e64 s7, 0, v40
	s_delay_alu instid0(VALU_DEP_2) | instskip(SKIP_1) | instid1(VALU_DEP_2)
	v_dual_cndmask_b32 v119, 0, v119, vcc_lo :: v_dual_lshlrev_b32 v41, 3, v41
	v_cndmask_b32_e32 v118, 7, v118, vcc_lo
	v_and_b32_e32 v41, 0xf8, v41
	s_delay_alu instid0(VALU_DEP_2) | instskip(NEXT) | instid1(VALU_DEP_2)
	v_cmp_eq_u64_e32 vcc_lo, 0, v[118:119]
	v_and_or_b32 v118, v118, 7, v41
	s_and_b32 s7, s7, vcc_lo
	s_delay_alu instid0(VALU_DEP_1) | instid1(SALU_CYCLE_1)
	v_cndmask_b32_e64 v118, v118, 0, s7
	s_delay_alu instid0(VALU_DEP_1)
	v_or_b32_e32 v40, v118, v3
.LBB4_1089:                             ;   in Loop: Header=BB4_799 Depth=2
	s_or_b32 exec_lo, exec_lo, s19
                                        ; implicit-def: $vgpr3
.LBB4_1090:                             ;   in Loop: Header=BB4_799 Depth=2
	s_and_not1_saveexec_b32 s7, s18
; %bb.1091:                             ;   in Loop: Header=BB4_799 Depth=2
	v_or_b32_e32 v40, 0x7e, v3
; %bb.1092:                             ;   in Loop: Header=BB4_799 Depth=2
	s_or_b32 exec_lo, exec_lo, s7
                                        ; implicit-def: $vgpr3
.LBB4_1093:                             ;   in Loop: Header=BB4_799 Depth=2
	s_and_not1_saveexec_b32 s7, s17
; %bb.1094:                             ;   in Loop: Header=BB4_799 Depth=2
	v_or_b32_e32 v40, 0x7f, v3
; %bb.1095:                             ;   in Loop: Header=BB4_799 Depth=2
	s_or_b32 exec_lo, exec_lo, s7
	v_dual_mov_b32 v118, 0 :: v_dual_mov_b32 v3, 0
	s_mov_b32 s7, exec_lo
	v_cmpx_lt_u32_e32 0xffffff, v2
	s_cbranch_execz .LBB4_1103
; %bb.1096:                             ;   in Loop: Header=BB4_799 Depth=2
	v_lshrrev_b32_e32 v119, 24, v2
	v_bfrev_b32_e32 v3, 1
	s_mov_b32 s17, exec_lo
	s_delay_alu instid0(VALU_DEP_2)
	v_cmpx_ne_u32_e32 0x80, v119
	s_cbranch_execz .LBB4_1102
; %bb.1097:                             ;   in Loop: Header=BB4_799 Depth=2
	v_bfe_u32 v59, v2, 24, 7
	v_mov_b32_e32 v3, 0x7f800001
	s_mov_b32 s18, exec_lo
	s_delay_alu instid0(VALU_DEP_2)
	v_cmpx_ne_u32_e32 0x7f, v59
	s_cbranch_execz .LBB4_1101
; %bb.1098:                             ;   in Loop: Header=BB4_799 Depth=2
	v_dual_mov_b32 v3, v65 :: v_dual_bitop2_b32 v2, 7, v119 bitop3:0x40
	v_lshrrev_b32_e32 v41, 3, v59
	s_mov_b32 s19, exec_lo
	v_cmpx_gt_u32_e32 8, v59
; %bb.1099:                             ;   in Loop: Header=BB4_799 Depth=2
	s_delay_alu instid0(VALU_DEP_3) | instskip(NEXT) | instid1(VALU_DEP_1)
	v_clz_i32_u32_e32 v41, v2
	v_min_u32_e32 v41, 32, v41
	s_delay_alu instid0(VALU_DEP_1) | instskip(NEXT) | instid1(VALU_DEP_1)
	v_subrev_nc_u32_e32 v59, 28, v41
	v_lshlrev_b64_e32 v[2:3], v59, v[2:3]
	s_delay_alu instid0(VALU_DEP_1)
	v_dual_sub_nc_u32 v41, 29, v41 :: v_dual_bitop2_b32 v2, 7, v2 bitop3:0x40
; %bb.1100:                             ;   in Loop: Header=BB4_799 Depth=2
	s_or_b32 exec_lo, exec_lo, s19
	s_delay_alu instid0(VALU_DEP_1) | instskip(NEXT) | instid1(VALU_DEP_2)
	v_dual_lshlrev_b32 v3, 24, v119 :: v_dual_lshlrev_b32 v2, 20, v2
	v_lshl_add_u32 v119, v41, 23, 0x3c000000
	s_delay_alu instid0(VALU_DEP_2) | instskip(NEXT) | instid1(VALU_DEP_1)
	v_and_b32_e32 v3, 0x80000000, v3
	v_or3_b32 v3, v2, v3, v119
.LBB4_1101:                             ;   in Loop: Header=BB4_799 Depth=2
	s_or_b32 exec_lo, exec_lo, s18
.LBB4_1102:                             ;   in Loop: Header=BB4_799 Depth=2
	s_delay_alu instid0(SALU_CYCLE_1)
	s_or_b32 exec_lo, exec_lo, s17
.LBB4_1103:                             ;   in Loop: Header=BB4_799 Depth=2
	s_delay_alu instid0(SALU_CYCLE_1) | instskip(NEXT) | instid1(SALU_CYCLE_1)
	s_or_b32 exec_lo, exec_lo, s7
	s_mov_b32 s7, exec_lo
	v_cmpx_lt_u32_e32 0xffffff, v64
	s_cbranch_execz .LBB4_1111
; %bb.1104:                             ;   in Loop: Header=BB4_799 Depth=2
	v_lshrrev_b32_e32 v2, 24, v64
	v_bfrev_b32_e32 v118, 1
	s_mov_b32 s17, exec_lo
	s_delay_alu instid0(VALU_DEP_2)
	v_cmpx_ne_u32_e32 0x80, v2
	s_cbranch_execz .LBB4_1110
; %bb.1105:                             ;   in Loop: Header=BB4_799 Depth=2
	v_bfe_u32 v119, v64, 24, 7
	v_mov_b32_e32 v118, 0x7f800001
	s_mov_b32 s18, exec_lo
	s_delay_alu instid0(VALU_DEP_2)
	v_cmpx_ne_u32_e32 0x7f, v119
	s_cbranch_execz .LBB4_1109
; %bb.1106:                             ;   in Loop: Header=BB4_799 Depth=2
	v_dual_lshrrev_b32 v118, 3, v119 :: v_dual_bitop2_b32 v64, 7, v2 bitop3:0x40
	s_mov_b32 s19, exec_lo
	v_cmpx_gt_u32_e32 8, v119
; %bb.1107:                             ;   in Loop: Header=BB4_799 Depth=2
	s_delay_alu instid0(VALU_DEP_2) | instskip(NEXT) | instid1(VALU_DEP_1)
	v_clz_i32_u32_e32 v118, v64
	v_min_u32_e32 v118, 32, v118
	s_delay_alu instid0(VALU_DEP_1) | instskip(NEXT) | instid1(VALU_DEP_1)
	v_subrev_nc_u32_e32 v119, 28, v118
	v_lshlrev_b64_e32 v[60:61], v119, v[64:65]
	s_delay_alu instid0(VALU_DEP_1)
	v_dual_sub_nc_u32 v118, 29, v118 :: v_dual_bitop2_b32 v64, 7, v60 bitop3:0x40
; %bb.1108:                             ;   in Loop: Header=BB4_799 Depth=2
	s_or_b32 exec_lo, exec_lo, s19
	s_delay_alu instid0(VALU_DEP_1) | instskip(NEXT) | instid1(VALU_DEP_2)
	v_dual_lshlrev_b32 v2, 24, v2 :: v_dual_lshlrev_b32 v64, 20, v64
	v_lshl_add_u32 v118, v118, 23, 0x3c000000
	s_delay_alu instid0(VALU_DEP_2) | instskip(NEXT) | instid1(VALU_DEP_1)
	v_and_b32_e32 v2, 0x80000000, v2
	v_or3_b32 v118, v64, v2, v118
.LBB4_1109:                             ;   in Loop: Header=BB4_799 Depth=2
	s_or_b32 exec_lo, exec_lo, s18
.LBB4_1110:                             ;   in Loop: Header=BB4_799 Depth=2
	s_delay_alu instid0(SALU_CYCLE_1)
	s_or_b32 exec_lo, exec_lo, s17
.LBB4_1111:                             ;   in Loop: Header=BB4_799 Depth=2
	s_delay_alu instid0(SALU_CYCLE_1) | instskip(NEXT) | instid1(VALU_DEP_1)
	s_or_b32 exec_lo, exec_lo, s7
	v_add_f32_e32 v2, v3, v118
                                        ; implicit-def: $vgpr41
	s_mov_b32 s7, exec_lo
	s_delay_alu instid0(VALU_DEP_1) | instskip(SKIP_1) | instid1(VALU_DEP_2)
	v_and_b32_e32 v64, 0x7f800000, v2
	v_lshrrev_b32_e32 v3, 24, v2
	v_cmpx_ne_u64_e32 0x7f800000, v[64:65]
	s_xor_b32 s17, exec_lo, s7
	s_cbranch_execz .LBB4_1125
; %bb.1112:                             ;   in Loop: Header=BB4_799 Depth=2
	v_and_b32_e32 v64, 0x7fffffff, v2
	v_and_b32_e32 v59, 0x80, v3
                                        ; implicit-def: $vgpr41
	s_mov_b32 s7, exec_lo
	s_delay_alu instid0(VALU_DEP_2)
	v_cmpx_gt_u64_e32 0x43e00001, v[64:65]
	s_xor_b32 s18, exec_lo, s7
	s_cbranch_execz .LBB4_1122
; %bb.1113:                             ;   in Loop: Header=BB4_799 Depth=2
	v_mov_b32_e32 v41, 0
	s_mov_b32 s19, exec_lo
	v_cmpx_ne_u32_e32 0, v2
	s_cbranch_execz .LBB4_1121
; %bb.1114:                             ;   in Loop: Header=BB4_799 Depth=2
	v_bfe_u32 v41, v2, 23, 8
	v_and_b32_e32 v64, 0x7fffff, v2
	s_delay_alu instid0(VALU_DEP_2) | instskip(NEXT) | instid1(VALU_DEP_2)
	v_cmp_gt_u32_e32 vcc_lo, 0x7a, v41
	v_or_b32_e32 v118, 0x800000, v64
	v_sub_nc_u32_e32 v3, 0x79, v41
	s_delay_alu instid0(VALU_DEP_1) | instskip(SKIP_1) | instid1(VALU_DEP_2)
	v_cndmask_b32_e32 v3, 0, v3, vcc_lo
	v_cmp_eq_u32_e32 vcc_lo, 0, v41
	v_cndmask_b32_e64 v60, v3, 0x78, vcc_lo
	v_cndmask_b32_e32 v64, v118, v64, vcc_lo
	s_delay_alu instid0(VALU_DEP_2) | instskip(NEXT) | instid1(VALU_DEP_1)
	v_dual_add_nc_u32 v2, 20, v60 :: v_dual_add_nc_u32 v119, 19, v60
	v_lshlrev_b64_e64 v[2:3], v2, -1
	s_delay_alu instid0(VALU_DEP_2) | instskip(NEXT) | instid1(VALU_DEP_2)
	v_lshlrev_b64_e64 v[118:119], v119, 1
	v_bfi_b32 v63, v3, 0, 0
	s_delay_alu instid0(VALU_DEP_3) | instskip(SKIP_1) | instid1(VALU_DEP_2)
	v_bfi_b32 v62, v2, 0, v64
	v_lshrrev_b64 v[2:3], v60, v[64:65]
	v_cmp_eq_u64_e64 s7, v[62:63], v[118:119]
	s_delay_alu instid0(VALU_DEP_2)
	v_mov_b64_e32 v[118:119], v[2:3]
	s_and_saveexec_b32 s20, s7
; %bb.1115:                             ;   in Loop: Header=BB4_799 Depth=2
	v_bfe_u32 v64, v2, 20, 1
	s_delay_alu instid0(VALU_DEP_1) | instskip(NEXT) | instid1(VALU_DEP_1)
	v_add_nc_u64_e32 v[118:119], v[2:3], v[64:65]
	v_add_nc_u64_e32 v[118:119], -1, v[118:119]
; %bb.1116:                             ;   in Loop: Header=BB4_799 Depth=2
	s_or_b32 exec_lo, exec_lo, s20
	v_add_nc_u32_e32 v3, 0xffffff81, v41
	v_lshrrev_b32_e32 v64, 23, v2
	s_mov_b32 s7, exec_lo
	s_delay_alu instid0(VALU_DEP_2) | instskip(NEXT) | instid1(VALU_DEP_1)
	v_cndmask_b32_e64 v3, v3, 0xffffff82, vcc_lo
	v_add3_u32 v119, v60, v3, v64
	v_and_b32_e32 v3, 0xfffff, v118
                                        ; implicit-def: $vgpr118
	s_delay_alu instid0(VALU_DEP_1) | instskip(NEXT) | instid1(VALU_DEP_1)
	v_dual_add_nc_u32 v41, 6, v119 :: v_dual_add_nc_u32 v64, v3, v2
                                        ; implicit-def: $vgpr2_vgpr3
	v_cmpx_ne_u32_e32 0, v41
	s_xor_b32 s7, exec_lo, s7
; %bb.1117:                             ;   in Loop: Header=BB4_799 Depth=2
	s_delay_alu instid0(VALU_DEP_2) | instskip(SKIP_1) | instid1(VALU_DEP_1)
	v_cmp_lt_u64_e32 vcc_lo, 0xffffff, v[64:65]
	v_add_nc_u32_e32 v2, 7, v119
	v_cndmask_b32_e32 v118, v41, v2, vcc_lo
	v_cndmask_b32_e64 v2, 0, 1, vcc_lo
	s_delay_alu instid0(VALU_DEP_1)
	v_lshrrev_b64 v[2:3], v2, v[64:65]
; %bb.1118:                             ;   in Loop: Header=BB4_799 Depth=2
	s_and_not1_saveexec_b32 s7, s7
; %bb.1119:                             ;   in Loop: Header=BB4_799 Depth=2
	v_mov_b64_e32 v[2:3], v[64:65]
	v_bfe_u32 v118, v64, 23, 1
; %bb.1120:                             ;   in Loop: Header=BB4_799 Depth=2
	s_or_b32 exec_lo, exec_lo, s7
	s_delay_alu instid0(VALU_DEP_2) | instskip(NEXT) | instid1(VALU_DEP_2)
	v_lshrrev_b64 v[2:3], 20, v[2:3]
	v_cmp_gt_i32_e32 vcc_lo, 16, v118
	v_min_i32_e32 v64, 15, v118
	v_cmp_eq_u32_e64 s7, 0, v118
	s_delay_alu instid0(VALU_DEP_2) | instskip(SKIP_1) | instid1(VALU_DEP_2)
	v_dual_cndmask_b32 v3, 0, v3 :: v_dual_lshlrev_b32 v64, 3, v64
	v_cndmask_b32_e32 v2, 7, v2, vcc_lo
	v_and_b32_e32 v64, 0xf8, v64
	s_delay_alu instid0(VALU_DEP_2) | instskip(NEXT) | instid1(VALU_DEP_2)
	v_cmp_eq_u64_e32 vcc_lo, 0, v[2:3]
	v_and_or_b32 v2, v2, 7, v64
	s_and_b32 s7, s7, vcc_lo
	s_delay_alu instid0(VALU_DEP_1) | instid1(SALU_CYCLE_1)
	v_cndmask_b32_e64 v2, v2, 0, s7
	s_delay_alu instid0(VALU_DEP_1)
	v_or_b32_e32 v41, v2, v59
.LBB4_1121:                             ;   in Loop: Header=BB4_799 Depth=2
	s_or_b32 exec_lo, exec_lo, s19
                                        ; implicit-def: $vgpr59
.LBB4_1122:                             ;   in Loop: Header=BB4_799 Depth=2
	s_and_not1_saveexec_b32 s7, s18
; %bb.1123:                             ;   in Loop: Header=BB4_799 Depth=2
	v_or_b32_e32 v41, 0x7e, v59
; %bb.1124:                             ;   in Loop: Header=BB4_799 Depth=2
	s_or_b32 exec_lo, exec_lo, s7
                                        ; implicit-def: $vgpr3
.LBB4_1125:                             ;   in Loop: Header=BB4_799 Depth=2
	s_and_not1_saveexec_b32 s7, s17
; %bb.1126:                             ;   in Loop: Header=BB4_799 Depth=2
	v_or_b32_e32 v41, 0x7f, v3
; %bb.1127:                             ;   in Loop: Header=BB4_799 Depth=2
	s_or_b32 exec_lo, exec_lo, s7
	v_and_b32_e32 v64, 0xff, v4
	v_dual_mov_b32 v2, 0 :: v_dual_mov_b32 v3, 0
	s_mov_b32 s7, exec_lo
	s_delay_alu instid0(VALU_DEP_2)
	v_cmpx_ne_u16_e32 0, v64
	s_cbranch_execz .LBB4_1133
; %bb.1128:                             ;   in Loop: Header=BB4_799 Depth=2
	v_bfrev_b32_e32 v3, 1
	s_mov_b32 s17, exec_lo
	v_cmpx_ne_u16_e32 0x80, v64
	s_cbranch_execz .LBB4_1132
; %bb.1129:                             ;   in Loop: Header=BB4_799 Depth=2
	v_and_b32_e32 v64, 0x7f, v4
	v_mov_b32_e32 v3, 0x7f800001
	s_mov_b32 s18, exec_lo
	s_delay_alu instid0(VALU_DEP_2)
	v_cmpx_ne_u32_e32 0x7f, v64
	s_cbranch_execz .LBB4_1131
; %bb.1130:                             ;   in Loop: Header=BB4_799 Depth=2
	v_cmp_gt_u32_e32 vcc_lo, 8, v64
	v_and_b32_e32 v3, 7, v4
	s_delay_alu instid0(VALU_DEP_1) | instskip(NEXT) | instid1(VALU_DEP_1)
	v_clz_i32_u32_e32 v3, v3
	v_min_u32_e32 v3, 32, v3
	v_lshrrev_b32_e32 v118, 3, v64
	s_delay_alu instid0(VALU_DEP_2) | instskip(SKIP_1) | instid1(VALU_DEP_2)
	v_subrev_nc_u32_e32 v119, 28, v3
	v_sub_nc_u32_e32 v3, 29, v3
	v_cndmask_b32_e32 v64, 0, v119, vcc_lo
	s_delay_alu instid0(VALU_DEP_2) | instskip(NEXT) | instid1(VALU_DEP_2)
	v_cndmask_b32_e32 v3, v118, v3, vcc_lo
	v_lshlrev_b64_e32 v[118:119], v64, v[4:5]
	v_lshlrev_b32_e32 v5, 24, v4
	s_delay_alu instid0(VALU_DEP_3) | instskip(NEXT) | instid1(VALU_DEP_2)
	v_lshl_add_u32 v3, v3, 23, 0x3c000000
	v_and_b32_e32 v5, 0x80000000, v5
	s_delay_alu instid0(VALU_DEP_4) | instskip(NEXT) | instid1(VALU_DEP_1)
	v_lshlrev_b32_e32 v64, 20, v118
	v_and_b32_e32 v64, 0x700000, v64
	s_delay_alu instid0(VALU_DEP_1)
	v_or3_b32 v3, v64, v5, v3
.LBB4_1131:                             ;   in Loop: Header=BB4_799 Depth=2
	s_or_b32 exec_lo, exec_lo, s18
.LBB4_1132:                             ;   in Loop: Header=BB4_799 Depth=2
	s_delay_alu instid0(SALU_CYCLE_1)
	s_or_b32 exec_lo, exec_lo, s17
.LBB4_1133:                             ;   in Loop: Header=BB4_799 Depth=2
	s_delay_alu instid0(SALU_CYCLE_1) | instskip(SKIP_3) | instid1(VALU_DEP_1)
	s_or_b32 exec_lo, exec_lo, s7
	v_dual_lshlrev_b32 v64, 24, v47 :: v_dual_lshlrev_b32 v118, 16, v46
	v_lshl_or_b32 v5, v45, 8, v43
	s_mov_b32 s7, exec_lo
	v_or3_b32 v64, v118, v64, v5
	v_cmpx_ne_u32_e32 0, v43
	s_cbranch_execz .LBB4_1139
; %bb.1134:                             ;   in Loop: Header=BB4_799 Depth=2
	v_bfrev_b32_e32 v2, 1
	s_mov_b32 s17, exec_lo
	v_cmpx_ne_u32_e32 0x80, v43
	s_cbranch_execz .LBB4_1138
; %bb.1135:                             ;   in Loop: Header=BB4_799 Depth=2
	v_and_b32_e32 v118, 0x7f, v43
	v_mov_b32_e32 v2, 0x7f800001
	s_mov_b32 s18, exec_lo
	s_delay_alu instid0(VALU_DEP_2)
	v_cmpx_ne_u32_e32 0x7f, v118
	s_cbranch_execz .LBB4_1137
; %bb.1136:                             ;   in Loop: Header=BB4_799 Depth=2
	v_dual_lshrrev_b32 v119, 3, v118 :: v_dual_bitop2_b32 v2, 7, v43 bitop3:0x40
	v_cmp_gt_u32_e32 vcc_lo, 8, v118
	s_delay_alu instid0(VALU_DEP_2) | instskip(NEXT) | instid1(VALU_DEP_1)
	v_clz_i32_u32_e32 v2, v2
	v_min_u32_e32 v2, 32, v2
	s_delay_alu instid0(VALU_DEP_1) | instskip(NEXT) | instid1(VALU_DEP_1)
	v_subrev_nc_u32_e32 v43, 28, v2
	v_dual_sub_nc_u32 v2, 29, v2 :: v_dual_cndmask_b32 v118, 0, v43, vcc_lo
	s_delay_alu instid0(VALU_DEP_1) | instskip(NEXT) | instid1(VALU_DEP_2)
	v_cndmask_b32_e32 v2, v119, v2, vcc_lo
	v_lshlrev_b64_e32 v[118:119], v118, v[64:65]
	v_lshlrev_b32_e32 v119, 24, v64
	s_delay_alu instid0(VALU_DEP_3) | instskip(NEXT) | instid1(VALU_DEP_2)
	v_lshl_add_u32 v2, v2, 23, 0x3c000000
	v_and_b32_e32 v119, 0x80000000, v119
	s_delay_alu instid0(VALU_DEP_4) | instskip(NEXT) | instid1(VALU_DEP_1)
	v_lshlrev_b32_e32 v118, 20, v118
	v_and_b32_e32 v118, 0x700000, v118
	s_delay_alu instid0(VALU_DEP_1)
	v_or3_b32 v2, v118, v119, v2
.LBB4_1137:                             ;   in Loop: Header=BB4_799 Depth=2
	s_or_b32 exec_lo, exec_lo, s18
.LBB4_1138:                             ;   in Loop: Header=BB4_799 Depth=2
	s_delay_alu instid0(SALU_CYCLE_1)
	s_or_b32 exec_lo, exec_lo, s17
.LBB4_1139:                             ;   in Loop: Header=BB4_799 Depth=2
	s_delay_alu instid0(SALU_CYCLE_1) | instskip(NEXT) | instid1(VALU_DEP_1)
	s_or_b32 exec_lo, exec_lo, s7
	v_dual_add_f32 v2, v3, v2 :: v_dual_mov_b32 v119, v65
                                        ; implicit-def: $vgpr43
	s_mov_b32 s7, exec_lo
	s_delay_alu instid0(VALU_DEP_1) | instskip(SKIP_1) | instid1(VALU_DEP_2)
	v_and_b32_e32 v118, 0x7f800000, v2
	v_lshrrev_b32_e32 v3, 24, v2
	v_cmpx_ne_u64_e32 0x7f800000, v[118:119]
	s_xor_b32 s17, exec_lo, s7
	s_cbranch_execz .LBB4_1153
; %bb.1140:                             ;   in Loop: Header=BB4_799 Depth=2
	v_and_b32_e32 v118, 0x7fffffff, v2
	v_mov_b32_e32 v119, v65
	v_and_b32_e32 v45, 0x80, v3
                                        ; implicit-def: $vgpr43
	s_mov_b32 s7, exec_lo
	s_delay_alu instid0(VALU_DEP_2)
	v_cmpx_gt_u64_e32 0x43e00001, v[118:119]
	s_xor_b32 s18, exec_lo, s7
	s_cbranch_execz .LBB4_1150
; %bb.1141:                             ;   in Loop: Header=BB4_799 Depth=2
	v_mov_b32_e32 v43, 0
	s_mov_b32 s19, exec_lo
	v_cmpx_ne_u32_e32 0, v2
	s_cbranch_execz .LBB4_1149
; %bb.1142:                             ;   in Loop: Header=BB4_799 Depth=2
	v_bfe_u32 v43, v2, 23, 8
	v_and_b32_e32 v118, 0x7fffff, v2
	s_mov_b32 s20, exec_lo
	s_delay_alu instid0(VALU_DEP_2) | instskip(NEXT) | instid1(VALU_DEP_2)
	v_cmp_gt_u32_e32 vcc_lo, 0x7a, v43
	v_or_b32_e32 v119, 0x800000, v118
	v_sub_nc_u32_e32 v3, 0x79, v43
	s_delay_alu instid0(VALU_DEP_1) | instskip(SKIP_1) | instid1(VALU_DEP_2)
	v_cndmask_b32_e32 v3, 0, v3, vcc_lo
	v_cmp_eq_u32_e32 vcc_lo, 0, v43
	v_cndmask_b32_e64 v46, v3, 0x78, vcc_lo
	v_dual_cndmask_b32 v118, v119, v118 :: v_dual_mov_b32 v119, v65
	s_delay_alu instid0(VALU_DEP_2) | instskip(NEXT) | instid1(VALU_DEP_1)
	v_dual_add_nc_u32 v47, 19, v46 :: v_dual_add_nc_u32 v2, 20, v46
	v_lshlrev_b64_e64 v[60:61], v47, 1
	s_delay_alu instid0(VALU_DEP_2) | instskip(NEXT) | instid1(VALU_DEP_1)
	v_lshlrev_b64_e64 v[2:3], v2, -1
	v_bfi_b32 v63, v3, 0, 0
	s_delay_alu instid0(VALU_DEP_2) | instskip(SKIP_1) | instid1(VALU_DEP_1)
	v_bfi_b32 v62, v2, 0, v118
	v_lshrrev_b64 v[2:3], v46, v[118:119]
	v_mov_b64_e32 v[118:119], v[2:3]
	s_delay_alu instid0(VALU_DEP_3)
	v_cmpx_eq_u64_e64 v[62:63], v[60:61]
; %bb.1143:                             ;   in Loop: Header=BB4_799 Depth=2
	v_bfe_u32 v118, v2, 20, 1
	v_mov_b32_e32 v119, v65
	s_delay_alu instid0(VALU_DEP_1) | instskip(NEXT) | instid1(VALU_DEP_1)
	v_add_nc_u64_e32 v[118:119], v[2:3], v[118:119]
	v_add_nc_u64_e32 v[118:119], -1, v[118:119]
; %bb.1144:                             ;   in Loop: Header=BB4_799 Depth=2
	s_or_b32 exec_lo, exec_lo, s20
	v_add_nc_u32_e32 v3, 0xffffff81, v43
	v_lshrrev_b32_e32 v119, 23, v2
	s_mov_b32 s7, exec_lo
	s_delay_alu instid0(VALU_DEP_2) | instskip(NEXT) | instid1(VALU_DEP_1)
	v_cndmask_b32_e64 v3, v3, 0xffffff82, vcc_lo
	v_add3_u32 v119, v46, v3, v119
	v_and_b32_e32 v3, 0xfffff, v118
                                        ; implicit-def: $vgpr118
	s_delay_alu instid0(VALU_DEP_1) | instskip(SKIP_1) | instid1(VALU_DEP_2)
	v_dual_add_nc_u32 v43, 6, v119 :: v_dual_add_nc_u32 v2, v3, v2
	v_mov_b32_e32 v3, v65
	v_cmpx_ne_u32_e32 0, v43
	s_xor_b32 s7, exec_lo, s7
; %bb.1145:                             ;   in Loop: Header=BB4_799 Depth=2
	s_delay_alu instid0(VALU_DEP_2) | instskip(SKIP_2) | instid1(VALU_DEP_2)
	v_cmp_lt_u64_e32 vcc_lo, 0xffffff, v[2:3]
	v_add_nc_u32_e32 v118, 7, v119
	v_cndmask_b32_e64 v119, 0, 1, vcc_lo
	v_cndmask_b32_e32 v118, v43, v118, vcc_lo
	s_delay_alu instid0(VALU_DEP_2)
	v_lshrrev_b64 v[2:3], v119, v[2:3]
; %bb.1146:                             ;   in Loop: Header=BB4_799 Depth=2
	s_and_not1_saveexec_b32 s7, s7
; %bb.1147:                             ;   in Loop: Header=BB4_799 Depth=2
	s_delay_alu instid0(VALU_DEP_1)
	v_bfe_u32 v118, v2, 23, 1
; %bb.1148:                             ;   in Loop: Header=BB4_799 Depth=2
	s_or_b32 exec_lo, exec_lo, s7
	s_delay_alu instid0(VALU_DEP_2) | instskip(NEXT) | instid1(VALU_DEP_2)
	v_lshrrev_b64 v[2:3], 20, v[2:3]
	v_cmp_gt_i32_e32 vcc_lo, 16, v118
	v_min_i32_e32 v119, 15, v118
	v_cmp_eq_u32_e64 s7, 0, v118
	s_delay_alu instid0(VALU_DEP_4) | instskip(NEXT) | instid1(VALU_DEP_3)
	v_cndmask_b32_e32 v3, 0, v3, vcc_lo
	v_dual_cndmask_b32 v2, 7, v2 :: v_dual_lshlrev_b32 v119, 3, v119
	s_delay_alu instid0(VALU_DEP_1) | instskip(NEXT) | instid1(VALU_DEP_2)
	v_and_b32_e32 v119, 0xf8, v119
	v_cmp_eq_u64_e32 vcc_lo, 0, v[2:3]
	s_delay_alu instid0(VALU_DEP_2)
	v_and_or_b32 v2, v2, 7, v119
	s_and_b32 s7, s7, vcc_lo
	s_delay_alu instid0(VALU_DEP_1) | instid1(SALU_CYCLE_1)
	v_cndmask_b32_e64 v2, v2, 0, s7
	s_delay_alu instid0(VALU_DEP_1)
	v_or_b32_e32 v43, v2, v45
.LBB4_1149:                             ;   in Loop: Header=BB4_799 Depth=2
	s_or_b32 exec_lo, exec_lo, s19
                                        ; implicit-def: $vgpr45
.LBB4_1150:                             ;   in Loop: Header=BB4_799 Depth=2
	s_and_not1_saveexec_b32 s7, s18
; %bb.1151:                             ;   in Loop: Header=BB4_799 Depth=2
	v_or_b32_e32 v43, 0x7e, v45
; %bb.1152:                             ;   in Loop: Header=BB4_799 Depth=2
	s_or_b32 exec_lo, exec_lo, s7
                                        ; implicit-def: $vgpr3
.LBB4_1153:                             ;   in Loop: Header=BB4_799 Depth=2
	s_and_not1_saveexec_b32 s7, s17
; %bb.1154:                             ;   in Loop: Header=BB4_799 Depth=2
	v_or_b32_e32 v43, 0x7f, v3
; %bb.1155:                             ;   in Loop: Header=BB4_799 Depth=2
	s_or_b32 exec_lo, exec_lo, s7
	v_lshrrev_b16 v2, 8, v4
	v_dual_mov_b32 v118, 0 :: v_dual_mov_b32 v119, 0
	s_mov_b32 s7, exec_lo
	s_delay_alu instid0(VALU_DEP_2)
	v_cmpx_ne_u16_e32 0, v2
	s_cbranch_execz .LBB4_1163
; %bb.1156:                             ;   in Loop: Header=BB4_799 Depth=2
	v_bfrev_b32_e32 v119, 1
	s_mov_b32 s17, exec_lo
	v_cmpx_ne_u16_e32 0x80, v2
	s_cbranch_execz .LBB4_1162
; %bb.1157:                             ;   in Loop: Header=BB4_799 Depth=2
	v_and_b32_e32 v2, 0xffff, v2
	v_mov_b32_e32 v119, 0x7f800001
	s_mov_b32 s18, exec_lo
	s_delay_alu instid0(VALU_DEP_2) | instskip(NEXT) | instid1(VALU_DEP_1)
	v_and_b32_e32 v45, 0x7f, v2
	v_cmpx_ne_u32_e32 0x7f, v45
	s_cbranch_execz .LBB4_1161
; %bb.1158:                             ;   in Loop: Header=BB4_799 Depth=2
	v_dual_mov_b32 v3, v65 :: v_dual_bitop2_b32 v2, 7, v2 bitop3:0x40
	v_lshrrev_b32_e32 v119, 3, v45
	s_mov_b32 s19, exec_lo
	v_cmpx_gt_u32_e32 8, v45
; %bb.1159:                             ;   in Loop: Header=BB4_799 Depth=2
	s_delay_alu instid0(VALU_DEP_3) | instskip(NEXT) | instid1(VALU_DEP_1)
	v_clz_i32_u32_e32 v119, v2
	v_min_u32_e32 v119, 32, v119
	s_delay_alu instid0(VALU_DEP_1) | instskip(NEXT) | instid1(VALU_DEP_1)
	v_subrev_nc_u32_e32 v45, 28, v119
	v_lshlrev_b64_e32 v[2:3], v45, v[2:3]
	s_delay_alu instid0(VALU_DEP_1)
	v_dual_sub_nc_u32 v119, 29, v119 :: v_dual_bitop2_b32 v2, 7, v2 bitop3:0x40
; %bb.1160:                             ;   in Loop: Header=BB4_799 Depth=2
	s_or_b32 exec_lo, exec_lo, s19
	s_delay_alu instid0(VALU_DEP_1) | instskip(NEXT) | instid1(VALU_DEP_2)
	v_dual_lshlrev_b32 v3, 16, v4 :: v_dual_lshlrev_b32 v2, 20, v2
	v_lshl_add_u32 v119, v119, 23, 0x3c000000
	s_delay_alu instid0(VALU_DEP_2) | instskip(NEXT) | instid1(VALU_DEP_1)
	v_and_b32_e32 v3, 0x80000000, v3
	v_or3_b32 v119, v2, v3, v119
.LBB4_1161:                             ;   in Loop: Header=BB4_799 Depth=2
	s_or_b32 exec_lo, exec_lo, s18
.LBB4_1162:                             ;   in Loop: Header=BB4_799 Depth=2
	s_delay_alu instid0(SALU_CYCLE_1)
	s_or_b32 exec_lo, exec_lo, s17
.LBB4_1163:                             ;   in Loop: Header=BB4_799 Depth=2
	s_delay_alu instid0(SALU_CYCLE_1) | instskip(SKIP_2) | instid1(VALU_DEP_1)
	s_or_b32 exec_lo, exec_lo, s7
	v_lshrrev_b16 v2, 8, v5
	s_mov_b32 s7, exec_lo
	v_cmpx_ne_u16_e32 0, v2
	s_cbranch_execz .LBB4_1171
; %bb.1164:                             ;   in Loop: Header=BB4_799 Depth=2
	v_bfrev_b32_e32 v118, 1
	s_mov_b32 s17, exec_lo
	v_cmpx_ne_u16_e32 0x80, v2
	s_cbranch_execz .LBB4_1170
; %bb.1165:                             ;   in Loop: Header=BB4_799 Depth=2
	v_and_b32_e32 v2, 0xffff, v2
	v_mov_b32_e32 v118, 0x7f800001
	s_mov_b32 s18, exec_lo
	s_delay_alu instid0(VALU_DEP_2) | instskip(NEXT) | instid1(VALU_DEP_1)
	v_and_b32_e32 v45, 0x7f, v2
	v_cmpx_ne_u32_e32 0x7f, v45
	s_cbranch_execz .LBB4_1169
; %bb.1166:                             ;   in Loop: Header=BB4_799 Depth=2
	v_dual_mov_b32 v3, v65 :: v_dual_bitop2_b32 v2, 7, v2 bitop3:0x40
	v_lshrrev_b32_e32 v118, 3, v45
	s_mov_b32 s19, exec_lo
	v_cmpx_gt_u32_e32 8, v45
; %bb.1167:                             ;   in Loop: Header=BB4_799 Depth=2
	s_delay_alu instid0(VALU_DEP_3) | instskip(NEXT) | instid1(VALU_DEP_1)
	v_clz_i32_u32_e32 v118, v2
	v_min_u32_e32 v118, 32, v118
	s_delay_alu instid0(VALU_DEP_1) | instskip(SKIP_1) | instid1(VALU_DEP_2)
	v_subrev_nc_u32_e32 v45, 28, v118
	v_sub_nc_u32_e32 v118, 29, v118
	v_lshlrev_b64_e32 v[2:3], v45, v[2:3]
	s_delay_alu instid0(VALU_DEP_1)
	v_and_b32_e32 v2, 7, v2
; %bb.1168:                             ;   in Loop: Header=BB4_799 Depth=2
	s_or_b32 exec_lo, exec_lo, s19
	s_delay_alu instid0(VALU_DEP_1) | instskip(SKIP_1) | instid1(VALU_DEP_2)
	v_dual_lshlrev_b32 v3, 16, v5 :: v_dual_lshlrev_b32 v2, 20, v2
	v_lshl_add_u32 v5, v118, 23, 0x3c000000
	v_and_b32_e32 v3, 0x80000000, v3
	s_delay_alu instid0(VALU_DEP_1)
	v_or3_b32 v118, v2, v3, v5
.LBB4_1169:                             ;   in Loop: Header=BB4_799 Depth=2
	s_or_b32 exec_lo, exec_lo, s18
.LBB4_1170:                             ;   in Loop: Header=BB4_799 Depth=2
	s_delay_alu instid0(SALU_CYCLE_1)
	s_or_b32 exec_lo, exec_lo, s17
.LBB4_1171:                             ;   in Loop: Header=BB4_799 Depth=2
	s_delay_alu instid0(SALU_CYCLE_1) | instskip(NEXT) | instid1(VALU_DEP_1)
	s_or_b32 exec_lo, exec_lo, s7
	v_dual_add_f32 v2, v119, v118 :: v_dual_mov_b32 v119, v65
                                        ; implicit-def: $vgpr45
	s_mov_b32 s7, exec_lo
	s_delay_alu instid0(VALU_DEP_1) | instskip(SKIP_1) | instid1(VALU_DEP_2)
	v_and_b32_e32 v118, 0x7f800000, v2
	v_lshrrev_b32_e32 v3, 24, v2
	v_cmpx_ne_u64_e32 0x7f800000, v[118:119]
	s_xor_b32 s17, exec_lo, s7
	s_cbranch_execz .LBB4_1185
; %bb.1172:                             ;   in Loop: Header=BB4_799 Depth=2
	v_and_b32_e32 v118, 0x7fffffff, v2
	v_mov_b32_e32 v119, v65
	v_and_b32_e32 v5, 0x80, v3
                                        ; implicit-def: $vgpr45
	s_mov_b32 s7, exec_lo
	s_delay_alu instid0(VALU_DEP_2)
	v_cmpx_gt_u64_e32 0x43e00001, v[118:119]
	s_xor_b32 s18, exec_lo, s7
	s_cbranch_execz .LBB4_1182
; %bb.1173:                             ;   in Loop: Header=BB4_799 Depth=2
	v_mov_b32_e32 v45, 0
	s_mov_b32 s19, exec_lo
	v_cmpx_ne_u32_e32 0, v2
	s_cbranch_execz .LBB4_1181
; %bb.1174:                             ;   in Loop: Header=BB4_799 Depth=2
	v_bfe_u32 v45, v2, 23, 8
	v_and_b32_e32 v118, 0x7fffff, v2
	s_mov_b32 s20, exec_lo
	s_delay_alu instid0(VALU_DEP_2) | instskip(NEXT) | instid1(VALU_DEP_2)
	v_cmp_gt_u32_e32 vcc_lo, 0x7a, v45
	v_or_b32_e32 v119, 0x800000, v118
	v_sub_nc_u32_e32 v3, 0x79, v45
	s_delay_alu instid0(VALU_DEP_1) | instskip(SKIP_1) | instid1(VALU_DEP_2)
	v_cndmask_b32_e32 v3, 0, v3, vcc_lo
	v_cmp_eq_u32_e32 vcc_lo, 0, v45
	v_cndmask_b32_e64 v46, v3, 0x78, vcc_lo
	v_dual_cndmask_b32 v118, v119, v118 :: v_dual_mov_b32 v119, v65
	s_delay_alu instid0(VALU_DEP_2) | instskip(NEXT) | instid1(VALU_DEP_1)
	v_dual_add_nc_u32 v47, 19, v46 :: v_dual_add_nc_u32 v2, 20, v46
	v_lshlrev_b64_e64 v[60:61], v47, 1
	s_delay_alu instid0(VALU_DEP_2) | instskip(NEXT) | instid1(VALU_DEP_1)
	v_lshlrev_b64_e64 v[2:3], v2, -1
	v_bfi_b32 v63, v3, 0, 0
	s_delay_alu instid0(VALU_DEP_2) | instskip(SKIP_1) | instid1(VALU_DEP_1)
	v_bfi_b32 v62, v2, 0, v118
	v_lshrrev_b64 v[2:3], v46, v[118:119]
	v_mov_b64_e32 v[118:119], v[2:3]
	s_delay_alu instid0(VALU_DEP_3)
	v_cmpx_eq_u64_e64 v[62:63], v[60:61]
; %bb.1175:                             ;   in Loop: Header=BB4_799 Depth=2
	v_bfe_u32 v118, v2, 20, 1
	v_mov_b32_e32 v119, v65
	s_delay_alu instid0(VALU_DEP_1) | instskip(NEXT) | instid1(VALU_DEP_1)
	v_add_nc_u64_e32 v[118:119], v[2:3], v[118:119]
	v_add_nc_u64_e32 v[118:119], -1, v[118:119]
; %bb.1176:                             ;   in Loop: Header=BB4_799 Depth=2
	s_or_b32 exec_lo, exec_lo, s20
	v_add_nc_u32_e32 v3, 0xffffff81, v45
	v_lshrrev_b32_e32 v119, 23, v2
	s_mov_b32 s7, exec_lo
	s_delay_alu instid0(VALU_DEP_2) | instskip(NEXT) | instid1(VALU_DEP_1)
	v_cndmask_b32_e64 v3, v3, 0xffffff82, vcc_lo
	v_add3_u32 v119, v46, v3, v119
	v_and_b32_e32 v3, 0xfffff, v118
                                        ; implicit-def: $vgpr118
	s_delay_alu instid0(VALU_DEP_1) | instskip(SKIP_1) | instid1(VALU_DEP_2)
	v_dual_add_nc_u32 v45, 6, v119 :: v_dual_add_nc_u32 v2, v3, v2
	v_mov_b32_e32 v3, v65
	v_cmpx_ne_u32_e32 0, v45
	s_xor_b32 s7, exec_lo, s7
; %bb.1177:                             ;   in Loop: Header=BB4_799 Depth=2
	s_delay_alu instid0(VALU_DEP_2) | instskip(SKIP_2) | instid1(VALU_DEP_2)
	v_cmp_lt_u64_e32 vcc_lo, 0xffffff, v[2:3]
	v_add_nc_u32_e32 v118, 7, v119
	v_cndmask_b32_e64 v119, 0, 1, vcc_lo
	v_cndmask_b32_e32 v118, v45, v118, vcc_lo
	s_delay_alu instid0(VALU_DEP_2)
	v_lshrrev_b64 v[2:3], v119, v[2:3]
; %bb.1178:                             ;   in Loop: Header=BB4_799 Depth=2
	s_and_not1_saveexec_b32 s7, s7
; %bb.1179:                             ;   in Loop: Header=BB4_799 Depth=2
	s_delay_alu instid0(VALU_DEP_1)
	v_bfe_u32 v118, v2, 23, 1
; %bb.1180:                             ;   in Loop: Header=BB4_799 Depth=2
	s_or_b32 exec_lo, exec_lo, s7
	s_delay_alu instid0(VALU_DEP_2) | instskip(NEXT) | instid1(VALU_DEP_2)
	v_lshrrev_b64 v[2:3], 20, v[2:3]
	v_cmp_gt_i32_e32 vcc_lo, 16, v118
	v_min_i32_e32 v119, 15, v118
	v_cmp_eq_u32_e64 s7, 0, v118
	s_delay_alu instid0(VALU_DEP_4) | instskip(NEXT) | instid1(VALU_DEP_3)
	v_cndmask_b32_e32 v3, 0, v3, vcc_lo
	v_dual_cndmask_b32 v2, 7, v2 :: v_dual_lshlrev_b32 v119, 3, v119
	s_delay_alu instid0(VALU_DEP_1) | instskip(NEXT) | instid1(VALU_DEP_2)
	v_and_b32_e32 v119, 0xf8, v119
	v_cmp_eq_u64_e32 vcc_lo, 0, v[2:3]
	s_delay_alu instid0(VALU_DEP_2)
	v_and_or_b32 v2, v2, 7, v119
	s_and_b32 s7, s7, vcc_lo
	s_delay_alu instid0(VALU_DEP_1) | instid1(SALU_CYCLE_1)
	v_cndmask_b32_e64 v2, v2, 0, s7
	s_delay_alu instid0(VALU_DEP_1)
	v_or_b32_e32 v45, v2, v5
.LBB4_1181:                             ;   in Loop: Header=BB4_799 Depth=2
	s_or_b32 exec_lo, exec_lo, s19
                                        ; implicit-def: $vgpr5
.LBB4_1182:                             ;   in Loop: Header=BB4_799 Depth=2
	s_and_not1_saveexec_b32 s7, s18
; %bb.1183:                             ;   in Loop: Header=BB4_799 Depth=2
	v_or_b32_e32 v45, 0x7e, v5
; %bb.1184:                             ;   in Loop: Header=BB4_799 Depth=2
	s_or_b32 exec_lo, exec_lo, s7
                                        ; implicit-def: $vgpr3
.LBB4_1185:                             ;   in Loop: Header=BB4_799 Depth=2
	s_and_not1_saveexec_b32 s7, s17
; %bb.1186:                             ;   in Loop: Header=BB4_799 Depth=2
	v_or_b32_e32 v45, 0x7f, v3
; %bb.1187:                             ;   in Loop: Header=BB4_799 Depth=2
	s_or_b32 exec_lo, exec_lo, s7
	v_dual_lshrrev_b32 v119, 16, v4 :: v_dual_mov_b32 v5, 0
	v_mov_b32_e32 v118, 0
	s_mov_b32 s7, exec_lo
	s_delay_alu instid0(VALU_DEP_2) | instskip(NEXT) | instid1(VALU_DEP_1)
	v_and_b32_e32 v2, 0xff, v119
	v_cmpx_ne_u16_e32 0, v2
	s_cbranch_execz .LBB4_1195
; %bb.1188:                             ;   in Loop: Header=BB4_799 Depth=2
	v_bfrev_b32_e32 v118, 1
	s_mov_b32 s17, exec_lo
	v_cmpx_ne_u16_e32 0x80, v2
	s_cbranch_execz .LBB4_1194
; %bb.1189:                             ;   in Loop: Header=BB4_799 Depth=2
	v_bfe_u32 v46, v4, 16, 7
	v_mov_b32_e32 v118, 0x7f800001
	s_mov_b32 s18, exec_lo
	s_delay_alu instid0(VALU_DEP_2)
	v_cmpx_ne_u32_e32 0x7f, v46
	s_cbranch_execz .LBB4_1193
; %bb.1190:                             ;   in Loop: Header=BB4_799 Depth=2
	v_dual_mov_b32 v3, v65 :: v_dual_bitop2_b32 v2, 7, v119 bitop3:0x40
	v_lshrrev_b32_e32 v118, 3, v46
	s_mov_b32 s19, exec_lo
	v_cmpx_gt_u32_e32 8, v46
; %bb.1191:                             ;   in Loop: Header=BB4_799 Depth=2
	s_delay_alu instid0(VALU_DEP_3) | instskip(NEXT) | instid1(VALU_DEP_1)
	v_clz_i32_u32_e32 v118, v2
	v_min_u32_e32 v118, 32, v118
	s_delay_alu instid0(VALU_DEP_1) | instskip(SKIP_1) | instid1(VALU_DEP_2)
	v_subrev_nc_u32_e32 v46, 28, v118
	v_sub_nc_u32_e32 v118, 29, v118
	v_lshlrev_b64_e32 v[2:3], v46, v[2:3]
	s_delay_alu instid0(VALU_DEP_1)
	v_and_b32_e32 v2, 7, v2
; %bb.1192:                             ;   in Loop: Header=BB4_799 Depth=2
	s_or_b32 exec_lo, exec_lo, s19
	s_delay_alu instid0(VALU_DEP_1) | instskip(SKIP_1) | instid1(VALU_DEP_2)
	v_dual_lshlrev_b32 v3, 24, v119 :: v_dual_lshlrev_b32 v2, 20, v2
	v_lshl_add_u32 v118, v118, 23, 0x3c000000
	v_and_b32_e32 v3, 0x80000000, v3
	s_delay_alu instid0(VALU_DEP_1)
	v_or3_b32 v118, v2, v3, v118
.LBB4_1193:                             ;   in Loop: Header=BB4_799 Depth=2
	s_or_b32 exec_lo, exec_lo, s18
.LBB4_1194:                             ;   in Loop: Header=BB4_799 Depth=2
	s_delay_alu instid0(SALU_CYCLE_1)
	s_or_b32 exec_lo, exec_lo, s17
.LBB4_1195:                             ;   in Loop: Header=BB4_799 Depth=2
	s_delay_alu instid0(SALU_CYCLE_1) | instskip(SKIP_2) | instid1(VALU_DEP_1)
	s_or_b32 exec_lo, exec_lo, s7
	v_lshrrev_b32_e32 v2, 16, v64
	s_mov_b32 s7, exec_lo
	v_and_b32_e32 v3, 0xff, v2
	s_delay_alu instid0(VALU_DEP_1)
	v_cmpx_ne_u16_e32 0, v3
	s_cbranch_execz .LBB4_1203
; %bb.1196:                             ;   in Loop: Header=BB4_799 Depth=2
	v_bfrev_b32_e32 v5, 1
	s_mov_b32 s17, exec_lo
	v_cmpx_ne_u16_e32 0x80, v3
	s_cbranch_execz .LBB4_1202
; %bb.1197:                             ;   in Loop: Header=BB4_799 Depth=2
	v_bfe_u32 v119, v64, 16, 7
	v_mov_b32_e32 v5, 0x7f800001
	s_mov_b32 s18, exec_lo
	s_delay_alu instid0(VALU_DEP_2)
	v_cmpx_ne_u32_e32 0x7f, v119
	s_cbranch_execz .LBB4_1201
; %bb.1198:                             ;   in Loop: Header=BB4_799 Depth=2
	v_dual_mov_b32 v3, v65 :: v_dual_bitop2_b32 v2, 7, v2 bitop3:0x40
	v_lshrrev_b32_e32 v5, 3, v119
	s_mov_b32 s19, exec_lo
	v_cmpx_gt_u32_e32 8, v119
; %bb.1199:                             ;   in Loop: Header=BB4_799 Depth=2
	s_delay_alu instid0(VALU_DEP_3) | instskip(NEXT) | instid1(VALU_DEP_1)
	v_clz_i32_u32_e32 v5, v2
	v_min_u32_e32 v5, 32, v5
	s_delay_alu instid0(VALU_DEP_1) | instskip(NEXT) | instid1(VALU_DEP_1)
	v_subrev_nc_u32_e32 v119, 28, v5
	v_lshlrev_b64_e32 v[2:3], v119, v[2:3]
	s_delay_alu instid0(VALU_DEP_1)
	v_dual_sub_nc_u32 v5, 29, v5 :: v_dual_bitop2_b32 v2, 7, v2 bitop3:0x40
; %bb.1200:                             ;   in Loop: Header=BB4_799 Depth=2
	s_or_b32 exec_lo, exec_lo, s19
	s_delay_alu instid0(VALU_DEP_1) | instskip(NEXT) | instid1(VALU_DEP_2)
	v_dual_lshlrev_b32 v3, 8, v64 :: v_dual_lshlrev_b32 v2, 20, v2
	v_lshl_add_u32 v5, v5, 23, 0x3c000000
	s_delay_alu instid0(VALU_DEP_2) | instskip(NEXT) | instid1(VALU_DEP_1)
	v_and_b32_e32 v3, 0x80000000, v3
	v_or3_b32 v5, v2, v3, v5
.LBB4_1201:                             ;   in Loop: Header=BB4_799 Depth=2
	s_or_b32 exec_lo, exec_lo, s18
.LBB4_1202:                             ;   in Loop: Header=BB4_799 Depth=2
	s_delay_alu instid0(SALU_CYCLE_1)
	s_or_b32 exec_lo, exec_lo, s17
.LBB4_1203:                             ;   in Loop: Header=BB4_799 Depth=2
	s_delay_alu instid0(SALU_CYCLE_1) | instskip(NEXT) | instid1(VALU_DEP_1)
	s_or_b32 exec_lo, exec_lo, s7
	v_dual_add_f32 v2, v118, v5 :: v_dual_mov_b32 v119, v65
	s_delay_alu instid0(VALU_DEP_1) | instskip(SKIP_1) | instid1(VALU_DEP_2)
	v_and_b32_e32 v118, 0x7f800000, v2
	v_lshrrev_b32_e32 v3, 24, v2
	v_cmp_ne_u64_e32 vcc_lo, 0x7f800000, v[118:119]
                                        ; implicit-def: $vgpr118
	s_and_saveexec_b32 s7, vcc_lo
	s_delay_alu instid0(SALU_CYCLE_1)
	s_xor_b32 s17, exec_lo, s7
	s_cbranch_execz .LBB4_1217
; %bb.1204:                             ;   in Loop: Header=BB4_799 Depth=2
	v_and_b32_e32 v118, 0x7fffffff, v2
	v_mov_b32_e32 v119, v65
	v_and_b32_e32 v5, 0x80, v3
	s_delay_alu instid0(VALU_DEP_2) | instskip(SKIP_1) | instid1(SALU_CYCLE_1)
	v_cmp_gt_u64_e32 vcc_lo, 0x43e00001, v[118:119]
                                        ; implicit-def: $vgpr118
	s_and_saveexec_b32 s7, vcc_lo
	s_xor_b32 s18, exec_lo, s7
	s_cbranch_execz .LBB4_1214
; %bb.1205:                             ;   in Loop: Header=BB4_799 Depth=2
	v_mov_b32_e32 v118, 0
	s_mov_b32 s19, exec_lo
	v_cmpx_ne_u32_e32 0, v2
	s_cbranch_execz .LBB4_1213
; %bb.1206:                             ;   in Loop: Header=BB4_799 Depth=2
	v_bfe_u32 v46, v2, 23, 8
	v_and_b32_e32 v118, 0x7fffff, v2
	s_mov_b32 s20, exec_lo
	s_delay_alu instid0(VALU_DEP_2) | instskip(SKIP_1) | instid1(VALU_DEP_3)
	v_sub_nc_u32_e32 v3, 0x79, v46
	v_cmp_gt_u32_e32 vcc_lo, 0x7a, v46
	v_or_b32_e32 v119, 0x800000, v118
	s_delay_alu instid0(VALU_DEP_3) | instskip(SKIP_1) | instid1(VALU_DEP_3)
	v_cndmask_b32_e32 v3, 0, v3, vcc_lo
	v_cmp_eq_u32_e32 vcc_lo, 0, v46
	v_cndmask_b32_e32 v118, v119, v118, vcc_lo
	s_delay_alu instid0(VALU_DEP_3) | instskip(NEXT) | instid1(VALU_DEP_1)
	v_cndmask_b32_e64 v47, v3, 0x78, vcc_lo
	v_dual_mov_b32 v119, v65 :: v_dual_add_nc_u32 v2, 20, v47
	v_add_nc_u32_e32 v59, 19, v47
	s_delay_alu instid0(VALU_DEP_2) | instskip(NEXT) | instid1(VALU_DEP_2)
	v_lshlrev_b64_e64 v[2:3], v2, -1
	v_lshlrev_b64_e64 v[60:61], v59, 1
	s_delay_alu instid0(VALU_DEP_2) | instskip(NEXT) | instid1(VALU_DEP_3)
	v_bfi_b32 v63, v3, 0, 0
	v_bfi_b32 v62, v2, 0, v118
	v_lshrrev_b64 v[2:3], v47, v[118:119]
	s_delay_alu instid0(VALU_DEP_1) | instskip(NEXT) | instid1(VALU_DEP_3)
	v_mov_b64_e32 v[118:119], v[2:3]
	v_cmpx_eq_u64_e64 v[62:63], v[60:61]
; %bb.1207:                             ;   in Loop: Header=BB4_799 Depth=2
	v_bfe_u32 v118, v2, 20, 1
	v_mov_b32_e32 v119, v65
	s_delay_alu instid0(VALU_DEP_1) | instskip(NEXT) | instid1(VALU_DEP_1)
	v_add_nc_u64_e32 v[118:119], v[2:3], v[118:119]
	v_add_nc_u64_e32 v[118:119], -1, v[118:119]
; %bb.1208:                             ;   in Loop: Header=BB4_799 Depth=2
	s_or_b32 exec_lo, exec_lo, s20
	v_add_nc_u32_e32 v3, 0xffffff81, v46
	v_lshrrev_b32_e32 v119, 23, v2
	s_mov_b32 s7, exec_lo
	s_delay_alu instid0(VALU_DEP_2) | instskip(NEXT) | instid1(VALU_DEP_1)
	v_cndmask_b32_e64 v3, v3, 0xffffff82, vcc_lo
	v_add3_u32 v119, v47, v3, v119
	v_and_b32_e32 v3, 0xfffff, v118
                                        ; implicit-def: $vgpr118
	s_delay_alu instid0(VALU_DEP_1) | instskip(SKIP_1) | instid1(VALU_DEP_2)
	v_dual_add_nc_u32 v46, 6, v119 :: v_dual_add_nc_u32 v2, v3, v2
	v_mov_b32_e32 v3, v65
	v_cmpx_ne_u32_e32 0, v46
	s_xor_b32 s7, exec_lo, s7
; %bb.1209:                             ;   in Loop: Header=BB4_799 Depth=2
	s_delay_alu instid0(VALU_DEP_2) | instskip(SKIP_2) | instid1(VALU_DEP_2)
	v_cmp_lt_u64_e32 vcc_lo, 0xffffff, v[2:3]
	v_add_nc_u32_e32 v118, 7, v119
	v_cndmask_b32_e64 v119, 0, 1, vcc_lo
	v_cndmask_b32_e32 v118, v46, v118, vcc_lo
	s_delay_alu instid0(VALU_DEP_2)
	v_lshrrev_b64 v[2:3], v119, v[2:3]
; %bb.1210:                             ;   in Loop: Header=BB4_799 Depth=2
	s_and_not1_saveexec_b32 s7, s7
; %bb.1211:                             ;   in Loop: Header=BB4_799 Depth=2
	s_delay_alu instid0(VALU_DEP_1)
	v_bfe_u32 v118, v2, 23, 1
; %bb.1212:                             ;   in Loop: Header=BB4_799 Depth=2
	s_or_b32 exec_lo, exec_lo, s7
	s_delay_alu instid0(VALU_DEP_2) | instskip(NEXT) | instid1(VALU_DEP_2)
	v_lshrrev_b64 v[2:3], 20, v[2:3]
	v_cmp_gt_i32_e32 vcc_lo, 16, v118
	v_min_i32_e32 v119, 15, v118
	v_cmp_eq_u32_e64 s7, 0, v118
	s_delay_alu instid0(VALU_DEP_4) | instskip(NEXT) | instid1(VALU_DEP_3)
	v_cndmask_b32_e32 v3, 0, v3, vcc_lo
	v_dual_cndmask_b32 v2, 7, v2 :: v_dual_lshlrev_b32 v119, 3, v119
	s_delay_alu instid0(VALU_DEP_1) | instskip(NEXT) | instid1(VALU_DEP_2)
	v_and_b32_e32 v119, 0xf8, v119
	v_cmp_eq_u64_e32 vcc_lo, 0, v[2:3]
	s_delay_alu instid0(VALU_DEP_2)
	v_and_or_b32 v2, v2, 7, v119
	s_and_b32 s7, s7, vcc_lo
	s_delay_alu instid0(VALU_DEP_1) | instid1(SALU_CYCLE_1)
	v_cndmask_b32_e64 v2, v2, 0, s7
	s_delay_alu instid0(VALU_DEP_1)
	v_or_b32_e32 v118, v2, v5
.LBB4_1213:                             ;   in Loop: Header=BB4_799 Depth=2
	s_or_b32 exec_lo, exec_lo, s19
                                        ; implicit-def: $vgpr5
.LBB4_1214:                             ;   in Loop: Header=BB4_799 Depth=2
	s_and_not1_saveexec_b32 s7, s18
; %bb.1215:                             ;   in Loop: Header=BB4_799 Depth=2
	v_or_b32_e32 v118, 0x7e, v5
; %bb.1216:                             ;   in Loop: Header=BB4_799 Depth=2
	s_or_b32 exec_lo, exec_lo, s7
                                        ; implicit-def: $vgpr3
.LBB4_1217:                             ;   in Loop: Header=BB4_799 Depth=2
	s_and_not1_saveexec_b32 s7, s17
; %bb.1218:                             ;   in Loop: Header=BB4_799 Depth=2
	v_or_b32_e32 v118, 0x7f, v3
; %bb.1219:                             ;   in Loop: Header=BB4_799 Depth=2
	s_or_b32 exec_lo, exec_lo, s7
	v_and_b32_e32 v2, 0xff000000, v4
	v_dual_mov_b32 v3, v65 :: v_dual_mov_b32 v5, 0
	s_delay_alu instid0(VALU_DEP_1)
	v_cmp_ne_u64_e32 vcc_lo, 0, v[2:3]
	v_mov_b32_e32 v2, 0
	s_and_saveexec_b32 s7, vcc_lo
	s_cbranch_execz .LBB4_1227
; %bb.1220:                             ;   in Loop: Header=BB4_799 Depth=2
	v_lshrrev_b32_e32 v119, 24, v4
	v_bfrev_b32_e32 v2, 1
	s_mov_b32 s17, exec_lo
	s_delay_alu instid0(VALU_DEP_2)
	v_cmpx_ne_u32_e32 0x80, v119
	s_cbranch_execz .LBB4_1226
; %bb.1221:                             ;   in Loop: Header=BB4_799 Depth=2
	v_bfe_u32 v46, v4, 24, 7
	v_mov_b32_e32 v2, 0x7f800001
	s_mov_b32 s18, exec_lo
	s_delay_alu instid0(VALU_DEP_2)
	v_cmpx_ne_u32_e32 0x7f, v46
	s_cbranch_execz .LBB4_1225
; %bb.1222:                             ;   in Loop: Header=BB4_799 Depth=2
	v_dual_mov_b32 v3, v65 :: v_dual_bitop2_b32 v2, 7, v119 bitop3:0x40
	v_lshrrev_b32_e32 v4, 3, v46
	s_mov_b32 s19, exec_lo
	v_cmpx_gt_u32_e32 8, v46
; %bb.1223:                             ;   in Loop: Header=BB4_799 Depth=2
	s_delay_alu instid0(VALU_DEP_3) | instskip(NEXT) | instid1(VALU_DEP_1)
	v_clz_i32_u32_e32 v4, v2
	v_min_u32_e32 v4, 32, v4
	s_delay_alu instid0(VALU_DEP_1) | instskip(NEXT) | instid1(VALU_DEP_1)
	v_subrev_nc_u32_e32 v46, 28, v4
	v_lshlrev_b64_e32 v[2:3], v46, v[2:3]
	s_delay_alu instid0(VALU_DEP_1)
	v_dual_sub_nc_u32 v4, 29, v4 :: v_dual_bitop2_b32 v2, 7, v2 bitop3:0x40
; %bb.1224:                             ;   in Loop: Header=BB4_799 Depth=2
	s_or_b32 exec_lo, exec_lo, s19
	s_delay_alu instid0(VALU_DEP_1) | instskip(NEXT) | instid1(VALU_DEP_2)
	v_dual_lshlrev_b32 v3, 24, v119 :: v_dual_lshlrev_b32 v2, 20, v2
	v_lshl_add_u32 v4, v4, 23, 0x3c000000
	s_delay_alu instid0(VALU_DEP_2) | instskip(NEXT) | instid1(VALU_DEP_1)
	v_and_b32_e32 v3, 0x80000000, v3
	v_or3_b32 v2, v2, v3, v4
.LBB4_1225:                             ;   in Loop: Header=BB4_799 Depth=2
	s_or_b32 exec_lo, exec_lo, s18
.LBB4_1226:                             ;   in Loop: Header=BB4_799 Depth=2
	s_delay_alu instid0(SALU_CYCLE_1)
	s_or_b32 exec_lo, exec_lo, s17
.LBB4_1227:                             ;   in Loop: Header=BB4_799 Depth=2
	s_delay_alu instid0(SALU_CYCLE_1) | instskip(NEXT) | instid1(SALU_CYCLE_1)
	s_or_b32 exec_lo, exec_lo, s7
	s_mov_b32 s7, exec_lo
	v_cmpx_lt_u32_e32 0xffffff, v64
	s_cbranch_execz .LBB4_1235
; %bb.1228:                             ;   in Loop: Header=BB4_799 Depth=2
	v_lshrrev_b32_e32 v3, 24, v64
	v_bfrev_b32_e32 v5, 1
	s_mov_b32 s17, exec_lo
	s_delay_alu instid0(VALU_DEP_2)
	v_cmpx_ne_u32_e32 0x80, v3
	s_cbranch_execz .LBB4_1234
; %bb.1229:                             ;   in Loop: Header=BB4_799 Depth=2
	v_bfe_u32 v119, v64, 24, 7
	v_mov_b32_e32 v5, 0x7f800001
	s_mov_b32 s18, exec_lo
	s_delay_alu instid0(VALU_DEP_2)
	v_cmpx_ne_u32_e32 0x7f, v119
	s_cbranch_execz .LBB4_1233
; %bb.1230:                             ;   in Loop: Header=BB4_799 Depth=2
	v_and_b32_e32 v64, 7, v3
	v_lshrrev_b32_e32 v4, 3, v119
	s_mov_b32 s19, exec_lo
	v_cmpx_gt_u32_e32 8, v119
; %bb.1231:                             ;   in Loop: Header=BB4_799 Depth=2
	s_delay_alu instid0(VALU_DEP_3) | instskip(NEXT) | instid1(VALU_DEP_1)
	v_clz_i32_u32_e32 v4, v64
	v_min_u32_e32 v4, 32, v4
	s_delay_alu instid0(VALU_DEP_1) | instskip(NEXT) | instid1(VALU_DEP_1)
	v_subrev_nc_u32_e32 v5, 28, v4
	v_lshlrev_b64_e32 v[46:47], v5, v[64:65]
	s_delay_alu instid0(VALU_DEP_1)
	v_dual_sub_nc_u32 v4, 29, v4 :: v_dual_bitop2_b32 v64, 7, v46 bitop3:0x40
; %bb.1232:                             ;   in Loop: Header=BB4_799 Depth=2
	s_or_b32 exec_lo, exec_lo, s19
	s_delay_alu instid0(VALU_DEP_1) | instskip(NEXT) | instid1(VALU_DEP_2)
	v_dual_lshlrev_b32 v3, 24, v3 :: v_dual_lshlrev_b32 v5, 20, v64
	v_lshl_add_u32 v4, v4, 23, 0x3c000000
	s_delay_alu instid0(VALU_DEP_2) | instskip(NEXT) | instid1(VALU_DEP_1)
	v_and_b32_e32 v3, 0x80000000, v3
	v_or3_b32 v5, v5, v3, v4
.LBB4_1233:                             ;   in Loop: Header=BB4_799 Depth=2
	s_or_b32 exec_lo, exec_lo, s18
.LBB4_1234:                             ;   in Loop: Header=BB4_799 Depth=2
	s_delay_alu instid0(SALU_CYCLE_1)
	s_or_b32 exec_lo, exec_lo, s17
.LBB4_1235:                             ;   in Loop: Header=BB4_799 Depth=2
	s_delay_alu instid0(SALU_CYCLE_1) | instskip(NEXT) | instid1(VALU_DEP_1)
	s_or_b32 exec_lo, exec_lo, s7
	v_add_f32_e32 v3, v2, v5
                                        ; implicit-def: $vgpr2
	s_mov_b32 s7, exec_lo
	s_delay_alu instid0(VALU_DEP_1) | instskip(SKIP_1) | instid1(VALU_DEP_2)
	v_and_b32_e32 v64, 0x7f800000, v3
	v_lshrrev_b32_e32 v4, 24, v3
	v_cmpx_ne_u64_e32 0x7f800000, v[64:65]
	s_xor_b32 s17, exec_lo, s7
	s_cbranch_execz .LBB4_1249
; %bb.1236:                             ;   in Loop: Header=BB4_799 Depth=2
	v_and_b32_e32 v64, 0x7fffffff, v3
	v_and_b32_e32 v119, 0x80, v4
                                        ; implicit-def: $vgpr2
	s_mov_b32 s7, exec_lo
	s_delay_alu instid0(VALU_DEP_2)
	v_cmpx_gt_u64_e32 0x43e00001, v[64:65]
	s_xor_b32 s18, exec_lo, s7
	s_cbranch_execz .LBB4_1246
; %bb.1237:                             ;   in Loop: Header=BB4_799 Depth=2
	v_mov_b32_e32 v2, 0
	s_mov_b32 s19, exec_lo
	v_cmpx_ne_u32_e32 0, v3
	s_cbranch_execz .LBB4_1245
; %bb.1238:                             ;   in Loop: Header=BB4_799 Depth=2
	v_bfe_u32 v46, v3, 23, 8
	v_and_b32_e32 v4, 0x7fffff, v3
	s_delay_alu instid0(VALU_DEP_2) | instskip(SKIP_1) | instid1(VALU_DEP_3)
	v_sub_nc_u32_e32 v2, 0x79, v46
	v_cmp_gt_u32_e32 vcc_lo, 0x7a, v46
	v_or_b32_e32 v5, 0x800000, v4
	s_delay_alu instid0(VALU_DEP_3) | instskip(SKIP_1) | instid1(VALU_DEP_2)
	v_cndmask_b32_e32 v2, 0, v2, vcc_lo
	v_cmp_eq_u32_e32 vcc_lo, 0, v46
	v_cndmask_b32_e64 v47, v2, 0x78, vcc_lo
	s_delay_alu instid0(VALU_DEP_1) | instskip(SKIP_1) | instid1(VALU_DEP_2)
	v_dual_cndmask_b32 v64, v5, v4, vcc_lo :: v_dual_add_nc_u32 v2, 20, v47
	v_add_nc_u32_e32 v59, 19, v47
	v_lshlrev_b64_e64 v[2:3], v2, -1
	s_delay_alu instid0(VALU_DEP_2) | instskip(NEXT) | instid1(VALU_DEP_2)
	v_lshlrev_b64_e64 v[4:5], v59, 1
	v_bfi_b32 v61, v3, 0, 0
	s_delay_alu instid0(VALU_DEP_3) | instskip(SKIP_1) | instid1(VALU_DEP_2)
	v_bfi_b32 v60, v2, 0, v64
	v_lshrrev_b64 v[2:3], v47, v[64:65]
	v_cmp_eq_u64_e64 s7, v[60:61], v[4:5]
	s_delay_alu instid0(VALU_DEP_2)
	v_mov_b64_e32 v[4:5], v[2:3]
	s_and_saveexec_b32 s20, s7
; %bb.1239:                             ;   in Loop: Header=BB4_799 Depth=2
	v_bfe_u32 v64, v2, 20, 1
	s_delay_alu instid0(VALU_DEP_1) | instskip(NEXT) | instid1(VALU_DEP_1)
	v_add_nc_u64_e32 v[4:5], v[2:3], v[64:65]
	v_add_nc_u64_e32 v[4:5], -1, v[4:5]
; %bb.1240:                             ;   in Loop: Header=BB4_799 Depth=2
	s_or_b32 exec_lo, exec_lo, s20
	v_add_nc_u32_e32 v3, 0xffffff81, v46
	v_lshrrev_b32_e32 v5, 23, v2
	s_mov_b32 s7, exec_lo
	s_delay_alu instid0(VALU_DEP_2) | instskip(NEXT) | instid1(VALU_DEP_1)
	v_cndmask_b32_e64 v3, v3, 0xffffff82, vcc_lo
	v_add3_u32 v5, v47, v3, v5
	v_and_b32_e32 v3, 0xfffff, v4
                                        ; implicit-def: $vgpr4
	s_delay_alu instid0(VALU_DEP_1) | instskip(NEXT) | instid1(VALU_DEP_1)
	v_dual_add_nc_u32 v46, 6, v5 :: v_dual_add_nc_u32 v64, v3, v2
                                        ; implicit-def: $vgpr2_vgpr3
	v_cmpx_ne_u32_e32 0, v46
	s_xor_b32 s7, exec_lo, s7
; %bb.1241:                             ;   in Loop: Header=BB4_799 Depth=2
	s_delay_alu instid0(VALU_DEP_2) | instskip(SKIP_1) | instid1(VALU_DEP_1)
	v_cmp_lt_u64_e32 vcc_lo, 0xffffff, v[64:65]
	v_add_nc_u32_e32 v2, 7, v5
	v_cndmask_b32_e32 v4, v46, v2, vcc_lo
	v_cndmask_b32_e64 v2, 0, 1, vcc_lo
	s_delay_alu instid0(VALU_DEP_1)
	v_lshrrev_b64 v[2:3], v2, v[64:65]
; %bb.1242:                             ;   in Loop: Header=BB4_799 Depth=2
	s_and_not1_saveexec_b32 s7, s7
; %bb.1243:                             ;   in Loop: Header=BB4_799 Depth=2
	v_mov_b64_e32 v[2:3], v[64:65]
	v_bfe_u32 v4, v64, 23, 1
; %bb.1244:                             ;   in Loop: Header=BB4_799 Depth=2
	s_or_b32 exec_lo, exec_lo, s7
	s_delay_alu instid0(VALU_DEP_2) | instskip(NEXT) | instid1(VALU_DEP_2)
	v_lshrrev_b64 v[2:3], 20, v[2:3]
	v_cmp_gt_i32_e32 vcc_lo, 16, v4
	v_min_i32_e32 v5, 15, v4
	v_cmp_eq_u32_e64 s7, 0, v4
	s_delay_alu instid0(VALU_DEP_2) | instskip(SKIP_1) | instid1(VALU_DEP_2)
	v_dual_cndmask_b32 v3, 0, v3, vcc_lo :: v_dual_lshlrev_b32 v5, 3, v5
	v_cndmask_b32_e32 v2, 7, v2, vcc_lo
	v_and_b32_e32 v5, 0xf8, v5
	s_delay_alu instid0(VALU_DEP_2) | instskip(NEXT) | instid1(VALU_DEP_2)
	v_cmp_eq_u64_e32 vcc_lo, 0, v[2:3]
	v_and_or_b32 v2, v2, 7, v5
	s_and_b32 s7, s7, vcc_lo
	s_delay_alu instid0(VALU_DEP_1) | instid1(SALU_CYCLE_1)
	v_cndmask_b32_e64 v2, v2, 0, s7
	s_delay_alu instid0(VALU_DEP_1)
	v_or_b32_e32 v2, v2, v119
.LBB4_1245:                             ;   in Loop: Header=BB4_799 Depth=2
	s_or_b32 exec_lo, exec_lo, s19
                                        ; implicit-def: $vgpr119
.LBB4_1246:                             ;   in Loop: Header=BB4_799 Depth=2
	s_and_not1_saveexec_b32 s7, s18
; %bb.1247:                             ;   in Loop: Header=BB4_799 Depth=2
	v_or_b32_e32 v2, 0x7e, v119
; %bb.1248:                             ;   in Loop: Header=BB4_799 Depth=2
	s_or_b32 exec_lo, exec_lo, s7
                                        ; implicit-def: $vgpr4
.LBB4_1249:                             ;   in Loop: Header=BB4_799 Depth=2
	s_and_not1_saveexec_b32 s7, s17
; %bb.1250:                             ;   in Loop: Header=BB4_799 Depth=2
	v_or_b32_e32 v2, 0x7f, v4
; %bb.1251:                             ;   in Loop: Header=BB4_799 Depth=2
	s_or_b32 exec_lo, exec_lo, s7
	v_dual_lshlrev_b32 v3, 16, v40 :: v_dual_lshlrev_b32 v4, 16, v118
	s_delay_alu instid0(VALU_DEP_2) | instskip(SKIP_1) | instid1(VALU_DEP_3)
	v_dual_lshlrev_b32 v5, 24, v41 :: v_dual_lshlrev_b32 v64, 24, v2
	v_cmp_lt_u32_e32 vcc_lo, 7, v58
	v_lshl_or_b32 v2, v44, 8, v3
	s_delay_alu instid0(VALU_DEP_4) | instskip(SKIP_2) | instid1(VALU_DEP_2)
	v_lshl_or_b32 v3, v45, 8, v4
	s_mov_b32 s7, -1
	s_cmp_lg_u32 vcc_lo, exec_lo
	v_or3_b32 v2, v2, v5, v117
	s_delay_alu instid0(VALU_DEP_2)
	v_or3_b32 v3, v3, v64, v43
	s_cbranch_scc0 .LBB4_1267
; %bb.1252:                             ;   in Loop: Header=BB4_799 Depth=2
	s_mov_b32 s17, exec_lo
	flat_store_b8 v[18:19], v117
	s_wait_xcnt 0x0
	v_cmpx_ne_u32_e32 1, v58
	s_cbranch_execz .LBB4_1254
; %bb.1253:                             ;   in Loop: Header=BB4_799 Depth=2
	v_lshrrev_b32_e32 v4, 8, v2
	flat_store_b8 v[18:19], v4 offset:1
.LBB4_1254:                             ;   in Loop: Header=BB4_799 Depth=2
	s_wait_xcnt 0x0
	s_or_b32 exec_lo, exec_lo, s17
	s_delay_alu instid0(SALU_CYCLE_1)
	s_mov_b32 s17, exec_lo
	v_cmpx_lt_u32_e32 2, v58
	s_cbranch_execz .LBB4_1256
; %bb.1255:                             ;   in Loop: Header=BB4_799 Depth=2
	flat_store_d16_hi_b8 v[18:19], v2 offset:2
.LBB4_1256:                             ;   in Loop: Header=BB4_799 Depth=2
	s_wait_xcnt 0x0
	s_or_b32 exec_lo, exec_lo, s17
	s_delay_alu instid0(SALU_CYCLE_1)
	s_mov_b32 s17, exec_lo
	v_cmpx_lt_u32_e32 3, v58
	s_cbranch_execz .LBB4_1258
; %bb.1257:                             ;   in Loop: Header=BB4_799 Depth=2
	v_lshrrev_b32_e32 v4, 24, v2
	flat_store_b8 v[18:19], v4 offset:3
.LBB4_1258:                             ;   in Loop: Header=BB4_799 Depth=2
	s_wait_xcnt 0x0
	s_or_b32 exec_lo, exec_lo, s17
	s_delay_alu instid0(SALU_CYCLE_1)
	s_mov_b32 s17, exec_lo
	v_cmpx_lt_u32_e32 4, v58
	s_cbranch_execz .LBB4_1260
; %bb.1259:                             ;   in Loop: Header=BB4_799 Depth=2
	flat_store_b8 v[18:19], v43 offset:4
.LBB4_1260:                             ;   in Loop: Header=BB4_799 Depth=2
	s_wait_xcnt 0x0
	s_or_b32 exec_lo, exec_lo, s17
	s_delay_alu instid0(SALU_CYCLE_1)
	s_mov_b32 s17, exec_lo
	v_cmpx_lt_u32_e32 5, v58
	s_cbranch_execz .LBB4_1262
; %bb.1261:                             ;   in Loop: Header=BB4_799 Depth=2
	v_lshrrev_b32_e32 v4, 8, v3
	flat_store_b8 v[18:19], v4 offset:5
.LBB4_1262:                             ;   in Loop: Header=BB4_799 Depth=2
	s_wait_xcnt 0x0
	s_or_b32 exec_lo, exec_lo, s17
	s_delay_alu instid0(SALU_CYCLE_1)
	s_mov_b32 s17, exec_lo
	v_cmpx_lt_u32_e32 6, v58
	s_cbranch_execz .LBB4_1264
; %bb.1263:                             ;   in Loop: Header=BB4_799 Depth=2
	flat_store_d16_hi_b8 v[18:19], v3 offset:6
.LBB4_1264:                             ;   in Loop: Header=BB4_799 Depth=2
	s_wait_xcnt 0x0
	s_or_b32 exec_lo, exec_lo, s17
	s_and_saveexec_b32 s7, vcc_lo
	s_cbranch_execz .LBB4_1266
; %bb.1265:                             ;   in Loop: Header=BB4_799 Depth=2
	v_lshrrev_b32_e32 v4, 24, v3
	flat_store_b8 v[18:19], v4 offset:7
.LBB4_1266:                             ;   in Loop: Header=BB4_799 Depth=2
	s_wait_xcnt 0x0
	s_or_b32 exec_lo, exec_lo, s7
	s_mov_b32 s7, 0
.LBB4_1267:                             ;   in Loop: Header=BB4_799 Depth=2
	s_delay_alu instid0(SALU_CYCLE_1)
	s_and_b32 vcc_lo, exec_lo, s7
	s_cbranch_vccz .LBB4_798
; %bb.1268:                             ;   in Loop: Header=BB4_799 Depth=2
	global_store_b64 v[18:19], v[2:3], off
	s_branch .LBB4_798
.LBB4_1269:                             ;   in Loop: Header=BB4_42 Depth=1
	s_or_b32 exec_lo, exec_lo, s16
	s_delay_alu instid0(SALU_CYCLE_1)
	s_or_b32 exec_lo, exec_lo, s8
	s_and_saveexec_b32 s7, s3
	s_cbranch_execz .LBB4_796
.LBB4_1270:                             ;   in Loop: Header=BB4_42 Depth=1
	s_and_saveexec_b32 s8, s4
	s_delay_alu instid0(SALU_CYCLE_1)
	s_xor_b32 s8, exec_lo, s8
	s_cbranch_execz .LBB4_1285
; %bb.1271:                             ;   in Loop: Header=BB4_42 Depth=1
	s_and_saveexec_b32 s16, s5
	s_cbranch_execz .LBB4_1284
; %bb.1272:                             ;   in Loop: Header=BB4_42 Depth=1
	s_mov_b32 s18, exec_lo
	s_mov_b32 s17, exec_lo
	v_mbcnt_lo_u32_b32 v2, s18, 0
	global_wb scope:SCOPE_DEV
	s_wait_storecnt_dscnt 0x0
	global_inv scope:SCOPE_DEV
	v_cmpx_eq_u32_e32 0, v2
	s_cbranch_execz .LBB4_1274
; %bb.1273:                             ;   in Loop: Header=BB4_42 Depth=1
	s_bcnt1_i32_b32 s18, s18
	s_delay_alu instid0(SALU_CYCLE_1)
	v_mov_b32_e32 v64, s18
	s_wait_loadcnt 0x0
	ds_add_u64 v0, v[64:65]
	s_trap 2
.LBB4_1274:                             ;   in Loop: Header=BB4_42 Depth=1
	s_or_b32 exec_lo, exec_lo, s17
	s_trap 2
	ds_load_b64 v[2:3], v0
	s_wait_dscnt 0x0
	v_add_nc_u64_e32 v[52:53], v[52:53], v[82:83]
	s_mov_b32 s17, exec_lo
	s_delay_alu instid0(VALU_DEP_1)
	v_cmpx_lt_u64_e64 v[2:3], v[52:53]
	s_cbranch_execz .LBB4_1283
; %bb.1275:                             ;   in Loop: Header=BB4_42 Depth=1
	s_mov_b32 s18, 0
	s_mov_b32 s21, 0
                                        ; implicit-def: $sgpr19
                                        ; implicit-def: $sgpr20
	s_branch .LBB4_1277
.LBB4_1276:                             ;   in Loop: Header=BB4_1277 Depth=2
	s_or_b32 exec_lo, exec_lo, s23
	s_delay_alu instid0(SALU_CYCLE_1) | instskip(NEXT) | instid1(SALU_CYCLE_1)
	s_and_b32 s22, exec_lo, s24
	s_or_b32 s18, s22, s18
	s_and_not1_b32 s19, s19, exec_lo
	s_and_b32 s22, s20, exec_lo
	s_delay_alu instid0(SALU_CYCLE_1)
	s_or_b32 s19, s19, s22
	s_and_not1_b32 exec_lo, exec_lo, s18
	s_cbranch_execz .LBB4_1281
.LBB4_1277:                             ;   Parent Loop BB4_42 Depth=1
                                        ; =>  This Inner Loop Header: Depth=2
	s_add_co_i32 s21, s21, 1
	s_delay_alu instid0(SALU_CYCLE_1) | instskip(SKIP_1) | instid1(SALU_CYCLE_1)
	s_cmp_lg_u32 s21, 0x2710
	s_cselect_b32 s22, -1, 0
	s_and_b32 vcc_lo, exec_lo, s22
	s_cbranch_vccz .LBB4_1279
; %bb.1278:                             ;   in Loop: Header=BB4_1277 Depth=2
	s_mov_b32 s24, -1
	s_or_b32 s20, s20, exec_lo
	s_and_saveexec_b32 s23, s22
	s_cbranch_execz .LBB4_1276
	s_branch .LBB4_1280
.LBB4_1279:                             ;   in Loop: Header=BB4_1277 Depth=2
	s_trap 2
	ds_load_b64 v[2:3], v0
	s_and_not1_b32 s22, s22, exec_lo
	s_mov_b32 s21, 0
	s_wait_loadcnt_dscnt 0x0
	flat_load_b32 v2, v[2:3] scope:SCOPE_SYS
	s_wait_loadcnt_dscnt 0x0
	global_inv scope:SCOPE_SYS
	v_cmp_eq_u32_e32 vcc_lo, 0, v2
	s_and_b32 s23, vcc_lo, exec_lo
	s_delay_alu instid0(SALU_CYCLE_1)
	s_or_b32 s22, s22, s23
	s_mov_b32 s24, -1
	s_or_b32 s20, s20, exec_lo
	s_and_saveexec_b32 s23, s22
	s_cbranch_execz .LBB4_1276
.LBB4_1280:                             ;   in Loop: Header=BB4_1277 Depth=2
	s_sleep 1
	s_trap 2
	ds_load_b64 v[2:3], v0
	s_wait_dscnt 0x0
	s_and_not1_b32 s20, s20, exec_lo
	v_cmp_ge_u64_e32 vcc_lo, v[2:3], v[52:53]
	s_or_not1_b32 s24, vcc_lo, exec_lo
	s_branch .LBB4_1276
.LBB4_1281:                             ;   in Loop: Header=BB4_42 Depth=1
	s_or_b32 exec_lo, exec_lo, s18
	s_and_saveexec_b32 s18, s19
	s_delay_alu instid0(SALU_CYCLE_1)
	s_xor_b32 s18, exec_lo, s18
	s_cbranch_execz .LBB4_1283
; %bb.1282:                             ;   in Loop: Header=BB4_42 Depth=1
	ds_store_b32 v0, v1
	s_trap 2
.LBB4_1283:                             ;   in Loop: Header=BB4_42 Depth=1
	s_or_b32 exec_lo, exec_lo, s17
	;;#ASMSTART
	s_wakeup
	;;#ASMEND
.LBB4_1284:                             ;   in Loop: Header=BB4_42 Depth=1
	s_or_b32 exec_lo, exec_lo, s16
.LBB4_1285:                             ;   in Loop: Header=BB4_42 Depth=1
	s_and_not1_saveexec_b32 s8, s8
	s_cbranch_execz .LBB4_1287
; %bb.1286:                             ;   in Loop: Header=BB4_42 Depth=1
	global_wb scope:SCOPE_DEV
	s_wait_storecnt 0x0
	s_wait_loadcnt_dscnt 0x0
	global_inv scope:SCOPE_DEV
	s_barrier_signal -1
	s_barrier_wait -1
.LBB4_1287:                             ;   in Loop: Header=BB4_42 Depth=1
	s_or_b32 exec_lo, exec_lo, s8
	s_delay_alu instid0(SALU_CYCLE_1)
	s_or_b32 exec_lo, exec_lo, s7
	s_and_saveexec_b32 s7, s6
	s_cbranch_execz .LBB4_41
.LBB4_1288:                             ;   in Loop: Header=BB4_42 Depth=1
	v_add_nc_u64_e32 v[38:39], 1, v[38:39]
	global_wb scope:SCOPE_SYS
	s_wait_storecnt 0x0
	s_wait_loadcnt_dscnt 0x0
	flat_store_b64 v[48:49], v[38:39] scope:SCOPE_SYS
	s_branch .LBB4_41
.LBB4_1289:
	s_or_b32 exec_lo, exec_lo, s14
	s_delay_alu instid0(SALU_CYCLE_1)
	s_or_b32 exec_lo, exec_lo, s12
	s_and_saveexec_b32 s1, s9
	s_cbranch_execz .LBB4_26
.LBB4_1290:
	s_wait_dscnt 0x0
	flat_store_b64 v[28:29], v[38:39] offset:104
	s_wait_xcnt 0x0
	s_or_b32 exec_lo, exec_lo, s1
	s_and_saveexec_b32 s1, s0
	s_cbranch_execnz .LBB4_27
	s_branch .LBB4_28
.LBB4_1291:
	s_or_b32 exec_lo, exec_lo, s4
	s_and_saveexec_b32 s4, s5
	s_delay_alu instid0(SALU_CYCLE_1)
	s_xor_b32 s4, exec_lo, s4
	s_cbranch_execz .LBB4_1293
; %bb.1292:
	v_mov_b32_e32 v0, 1
	ds_store_b32 v0, v0
	s_trap 2
.LBB4_1293:
	s_or_b32 exec_lo, exec_lo, s3
	;;#ASMSTART
	s_wakeup
	;;#ASMEND
.LBB4_1294:
	s_or_b32 exec_lo, exec_lo, s2
.LBB4_1295:
	s_and_not1_saveexec_b32 s1, s1
	s_cbranch_execz .LBB4_1297
; %bb.1296:
	global_wb scope:SCOPE_DEV
	s_wait_storecnt 0x0
	s_wait_loadcnt_dscnt 0x0
	global_inv scope:SCOPE_DEV
	s_barrier_signal -1
	s_barrier_wait -1
.LBB4_1297:
	s_or_b32 exec_lo, exec_lo, s0
	s_clause 0x19
	scratch_load_b32 v89, off, s32
	scratch_load_b32 v88, off, s32 offset:4
	scratch_load_b32 v79, off, s32 offset:8
	;; [unrolled: 1-line block ×25, first 2 shown]
	s_wait_loadcnt_dscnt 0x0
	s_set_pc_i64 s[30:31]
.Lfunc_end4:
	.size	_ZN12_GLOBAL__N_17runRingI14__hip_fp8_e4m313FuncPreMulSumIS1_E7ProtoLLLi0ELi4ELi0EEEviiP15ncclDevWorkColl, .Lfunc_end4-_ZN12_GLOBAL__N_17runRingI14__hip_fp8_e4m313FuncPreMulSumIS1_E7ProtoLLLi0ELi4ELi0EEEviiP15ncclDevWorkColl
                                        ; -- End function
	.set .L_ZN12_GLOBAL__N_17runRingI14__hip_fp8_e4m313FuncPreMulSumIS1_E7ProtoLLLi0ELi4ELi0EEEviiP15ncclDevWorkColl.num_vgpr, 120
	.set .L_ZN12_GLOBAL__N_17runRingI14__hip_fp8_e4m313FuncPreMulSumIS1_E7ProtoLLLi0ELi4ELi0EEEviiP15ncclDevWorkColl.num_agpr, 0
	.set .L_ZN12_GLOBAL__N_17runRingI14__hip_fp8_e4m313FuncPreMulSumIS1_E7ProtoLLLi0ELi4ELi0EEEviiP15ncclDevWorkColl.numbered_sgpr, 33
	.set .L_ZN12_GLOBAL__N_17runRingI14__hip_fp8_e4m313FuncPreMulSumIS1_E7ProtoLLLi0ELi4ELi0EEEviiP15ncclDevWorkColl.num_named_barrier, 0
	.set .L_ZN12_GLOBAL__N_17runRingI14__hip_fp8_e4m313FuncPreMulSumIS1_E7ProtoLLLi0ELi4ELi0EEEviiP15ncclDevWorkColl.private_seg_size, 108
	.set .L_ZN12_GLOBAL__N_17runRingI14__hip_fp8_e4m313FuncPreMulSumIS1_E7ProtoLLLi0ELi4ELi0EEEviiP15ncclDevWorkColl.uses_vcc, 1
	.set .L_ZN12_GLOBAL__N_17runRingI14__hip_fp8_e4m313FuncPreMulSumIS1_E7ProtoLLLi0ELi4ELi0EEEviiP15ncclDevWorkColl.uses_flat_scratch, 1
	.set .L_ZN12_GLOBAL__N_17runRingI14__hip_fp8_e4m313FuncPreMulSumIS1_E7ProtoLLLi0ELi4ELi0EEEviiP15ncclDevWorkColl.has_dyn_sized_stack, 0
	.set .L_ZN12_GLOBAL__N_17runRingI14__hip_fp8_e4m313FuncPreMulSumIS1_E7ProtoLLLi0ELi4ELi0EEEviiP15ncclDevWorkColl.has_recursion, 0
	.set .L_ZN12_GLOBAL__N_17runRingI14__hip_fp8_e4m313FuncPreMulSumIS1_E7ProtoLLLi0ELi4ELi0EEEviiP15ncclDevWorkColl.has_indirect_call, 0
	.section	.AMDGPU.csdata,"",@progbits
; Function info:
; codeLenInByte = 43372
; TotalNumSgprs: 35
; NumVgprs: 120
; ScratchSize: 108
; MemoryBound: 0
	.text
	.p2align	2                               ; -- Begin function _Z56ncclDevFunc_ReduceScatter_RING_LL_PreMulSum_f8e4m3_0_0_4v
	.type	_Z56ncclDevFunc_ReduceScatter_RING_LL_PreMulSum_f8e4m3_0_0_4v,@function
_Z56ncclDevFunc_ReduceScatter_RING_LL_PreMulSum_f8e4m3_0_0_4v: ; @_Z56ncclDevFunc_ReduceScatter_RING_LL_PreMulSum_f8e4m3_0_0_4v
; %bb.0:
	s_wait_loadcnt_dscnt 0x0
	s_wait_kmcnt 0x0
	s_mov_b32 s46, s33
	s_mov_b32 s33, s32
	s_or_saveexec_b32 s0, -1
	scratch_store_b32 off, v41, s33 offset:4 ; 4-byte Folded Spill
	s_wait_xcnt 0x0
	s_mov_b32 exec_lo, s0
	s_add_co_i32 s32, s32, 16
	scratch_store_b32 off, v40, s33         ; 4-byte Folded Spill
	v_writelane_b32 v41, s30, 0
	v_writelane_b32 v41, s31, 1
	s_trap 2
	ds_load_b32 v0, v0
	s_wait_xcnt 0x0
	v_and_b32_e32 v40, 0x3ff, v31
	s_mov_b32 s29, s12
	s_mov_b64 s[40:41], s[8:9]
	s_mov_b32 s2, exec_lo
	s_wait_dscnt 0x0
	v_cmpx_lt_i32_e64 v40, v0
	s_cbranch_execz .LBB5_5
; %bb.1:
	s_load_b32 s0, s[40:41], 0x0
	s_bfe_u32 s1, ttmp6, 0x4000c
	s_and_b32 s3, ttmp6, 15
	s_add_co_i32 s1, s1, 1
	s_getreg_b32 s4, hwreg(HW_REG_IB_STS2, 6, 4)
	s_mul_i32 s1, ttmp9, s1
	v_mov_b32_e32 v2, v40
	s_add_co_i32 s3, s3, s1
	s_cmp_eq_u32 s4, 0
                                        ; implicit-def: $vgpr3
	s_cselect_b32 s1, ttmp9, s3
	s_mov_b32 s3, 0
	s_wait_kmcnt 0x0
	s_cmp_lt_u32 s1, s0
	s_mov_b32 s1, 0
	s_cselect_b32 s0, 12, 18
	s_delay_alu instid0(SALU_CYCLE_1)
	s_add_nc_u64 s[4:5], s[40:41], s[0:1]
	s_load_u16 s0, s[4:5], 0x0
	s_trap 2
	ds_load_b32 v1, v0
	s_wait_dscnt 0x0
	s_wait_kmcnt 0x0
	v_mul_lo_u32 v1, v1, s0
	s_branch .LBB5_3
.LBB5_2:                                ;   in Loop: Header=BB5_3 Depth=1
	s_or_b32 exec_lo, exec_lo, s4
	v_dual_add_nc_u32 v2, s0, v2 :: v_dual_add_nc_u32 v3, v3, v1
	s_delay_alu instid0(VALU_DEP_1) | instskip(SKIP_1) | instid1(SALU_CYCLE_1)
	v_cmp_ge_i32_e32 vcc_lo, v2, v0
	s_or_b32 s3, vcc_lo, s3
	s_and_not1_b32 exec_lo, exec_lo, s3
	s_cbranch_execz .LBB5_5
.LBB5_3:                                ; =>This Inner Loop Header: Depth=1
	ds_load_b32 v4, v3
	s_mov_b32 s4, exec_lo
	s_wait_dscnt 0x0
	v_and_b32_e32 v4, 0x1000000, v4
	s_delay_alu instid0(VALU_DEP_1)
	v_cmpx_ne_u32_e32 0, v4
	s_cbranch_execz .LBB5_2
; %bb.4:                                ;   in Loop: Header=BB5_3 Depth=1
	ds_load_b64 v[4:5], v3 offset:104
	s_wait_dscnt 0x0
	flat_load_u8 v4, v[4:5]
	s_wait_xcnt 0x0
	v_mov_b32_e32 v5, s1
	s_wait_loadcnt_dscnt 0x0
	v_and_b32_e32 v4, 0xffff, v4
	ds_store_b64 v3, v[4:5] offset:104
	s_branch .LBB5_2
.LBB5_5:
	s_or_b32 exec_lo, exec_lo, s2
	s_wait_storecnt_dscnt 0x0
	s_barrier_signal -1
	s_barrier_wait -1
	s_trap 2
	ds_load_b32 v0, v0
	s_wait_dscnt 0x0
	v_cmp_gt_i32_e32 vcc_lo, 1, v0
	s_cbranch_vccnz .LBB5_13
; %bb.6:
	s_mov_b32 s44, 0
	s_get_pc_i64 s[42:43]
	s_add_nc_u64 s[42:43], s[42:43], _ZN12_GLOBAL__N_17runRingI14__hip_fp8_e4m313FuncPreMulSumIS1_E7ProtoLLLi0ELi4ELi0EEEviiP15ncclDevWorkColl@rel64+4
	s_branch .LBB5_8
.LBB5_7:                                ;   in Loop: Header=BB5_8 Depth=1
	s_or_b32 exec_lo, exec_lo, s45
	s_trap 2
	ds_load_b32 v0, v0
	s_add_co_i32 s44, s44, 1
	s_wait_dscnt 0x0
	v_cmp_lt_i32_e32 vcc_lo, s44, v0
	s_cbranch_vccz .LBB5_13
.LBB5_8:                                ; =>This Inner Loop Header: Depth=1
	s_trap 2
	ds_load_b32 v0, v0
	s_cmp_eq_u32 s44, 0
	s_cbranch_scc1 .LBB5_11
; %bb.9:                                ;   in Loop: Header=BB5_8 Depth=1
	s_trap 2
	s_wait_dscnt 0x0
	ds_load_b32 v1, v0
	s_wait_dscnt 0x0
	v_xor_b32_e32 v1, v1, v0
	s_delay_alu instid0(VALU_DEP_1) | instskip(NEXT) | instid1(VALU_DEP_1)
	v_and_b32_e32 v1, 0xff0000, v1
	v_cmp_eq_u32_e32 vcc_lo, 0, v1
	s_cbranch_vccnz .LBB5_11
; %bb.10:                               ;   in Loop: Header=BB5_8 Depth=1
	s_barrier_signal -1
	s_barrier_wait -1
	ds_load_b32 v0, v0
.LBB5_11:                               ;   in Loop: Header=BB5_8 Depth=1
	s_wait_dscnt 0x0
	v_lshrrev_b32_e32 v0, 11, v0
	s_mov_b32 s45, exec_lo
	s_delay_alu instid0(VALU_DEP_1) | instskip(NEXT) | instid1(VALU_DEP_1)
	v_and_b32_e32 v1, 0x1fe0, v0
	v_cmpx_lt_u32_e64 v40, v1
	s_cbranch_execz .LBB5_7
; %bb.12:                               ;   in Loop: Header=BB5_8 Depth=1
	s_mov_b64 s[0:1], src_shared_base
	s_delay_alu instid0(SALU_CYCLE_1)
	v_dual_mov_b32 v0, v40 :: v_dual_mov_b32 v3, s1
	s_mov_b64 s[8:9], s[40:41]
	s_mov_b32 s12, s29
	s_swap_pc_i64 s[30:31], s[42:43]
	s_branch .LBB5_7
.LBB5_13:
	scratch_load_b32 v40, off, s33          ; 4-byte Folded Reload
	v_readlane_b32 s30, v41, 0
	v_readlane_b32 s31, v41, 1
	s_mov_b32 s32, s33
	s_wait_xcnt 0x0
	s_or_saveexec_b32 s0, -1
	scratch_load_b32 v41, off, s33 offset:4 ; 4-byte Folded Reload
	s_wait_xcnt 0x0
	s_mov_b32 exec_lo, s0
	s_mov_b32 s33, s46
	s_wait_loadcnt 0x0
	s_set_pc_i64 s[30:31]
.Lfunc_end5:
	.size	_Z56ncclDevFunc_ReduceScatter_RING_LL_PreMulSum_f8e4m3_0_0_4v, .Lfunc_end5-_Z56ncclDevFunc_ReduceScatter_RING_LL_PreMulSum_f8e4m3_0_0_4v
                                        ; -- End function
	.set .L_Z56ncclDevFunc_ReduceScatter_RING_LL_PreMulSum_f8e4m3_0_0_4v.num_vgpr, max(42, .L_ZN12_GLOBAL__N_17runRingI14__hip_fp8_e4m313FuncPreMulSumIS1_E7ProtoLLLi0ELi4ELi0EEEviiP15ncclDevWorkColl.num_vgpr)
	.set .L_Z56ncclDevFunc_ReduceScatter_RING_LL_PreMulSum_f8e4m3_0_0_4v.num_agpr, max(0, .L_ZN12_GLOBAL__N_17runRingI14__hip_fp8_e4m313FuncPreMulSumIS1_E7ProtoLLLi0ELi4ELi0EEEviiP15ncclDevWorkColl.num_agpr)
	.set .L_Z56ncclDevFunc_ReduceScatter_RING_LL_PreMulSum_f8e4m3_0_0_4v.numbered_sgpr, max(47, .L_ZN12_GLOBAL__N_17runRingI14__hip_fp8_e4m313FuncPreMulSumIS1_E7ProtoLLLi0ELi4ELi0EEEviiP15ncclDevWorkColl.numbered_sgpr)
	.set .L_Z56ncclDevFunc_ReduceScatter_RING_LL_PreMulSum_f8e4m3_0_0_4v.num_named_barrier, max(0, .L_ZN12_GLOBAL__N_17runRingI14__hip_fp8_e4m313FuncPreMulSumIS1_E7ProtoLLLi0ELi4ELi0EEEviiP15ncclDevWorkColl.num_named_barrier)
	.set .L_Z56ncclDevFunc_ReduceScatter_RING_LL_PreMulSum_f8e4m3_0_0_4v.private_seg_size, 16+max(.L_ZN12_GLOBAL__N_17runRingI14__hip_fp8_e4m313FuncPreMulSumIS1_E7ProtoLLLi0ELi4ELi0EEEviiP15ncclDevWorkColl.private_seg_size)
	.set .L_Z56ncclDevFunc_ReduceScatter_RING_LL_PreMulSum_f8e4m3_0_0_4v.uses_vcc, or(1, .L_ZN12_GLOBAL__N_17runRingI14__hip_fp8_e4m313FuncPreMulSumIS1_E7ProtoLLLi0ELi4ELi0EEEviiP15ncclDevWorkColl.uses_vcc)
	.set .L_Z56ncclDevFunc_ReduceScatter_RING_LL_PreMulSum_f8e4m3_0_0_4v.uses_flat_scratch, or(0, .L_ZN12_GLOBAL__N_17runRingI14__hip_fp8_e4m313FuncPreMulSumIS1_E7ProtoLLLi0ELi4ELi0EEEviiP15ncclDevWorkColl.uses_flat_scratch)
	.set .L_Z56ncclDevFunc_ReduceScatter_RING_LL_PreMulSum_f8e4m3_0_0_4v.has_dyn_sized_stack, or(0, .L_ZN12_GLOBAL__N_17runRingI14__hip_fp8_e4m313FuncPreMulSumIS1_E7ProtoLLLi0ELi4ELi0EEEviiP15ncclDevWorkColl.has_dyn_sized_stack)
	.set .L_Z56ncclDevFunc_ReduceScatter_RING_LL_PreMulSum_f8e4m3_0_0_4v.has_recursion, or(1, .L_ZN12_GLOBAL__N_17runRingI14__hip_fp8_e4m313FuncPreMulSumIS1_E7ProtoLLLi0ELi4ELi0EEEviiP15ncclDevWorkColl.has_recursion)
	.set .L_Z56ncclDevFunc_ReduceScatter_RING_LL_PreMulSum_f8e4m3_0_0_4v.has_indirect_call, or(0, .L_ZN12_GLOBAL__N_17runRingI14__hip_fp8_e4m313FuncPreMulSumIS1_E7ProtoLLLi0ELi4ELi0EEEviiP15ncclDevWorkColl.has_indirect_call)
	.section	.AMDGPU.csdata,"",@progbits
; Function info:
; codeLenInByte = 684
; TotalNumSgprs: 49
; NumVgprs: 120
; ScratchSize: 124
; MemoryBound: 0
	.text
	.p2alignl 7, 3214868480
	.fill 96, 4, 3214868480
	.section	.AMDGPU.gpr_maximums,"",@progbits
	.set amdgpu.max_num_vgpr, 120
	.set amdgpu.max_num_agpr, 0
	.set amdgpu.max_num_sgpr, 47
	.text
	.type	__hip_cuid_81cd8cc6f859c2e9,@object ; @__hip_cuid_81cd8cc6f859c2e9
	.section	.bss,"aw",@nobits
	.globl	__hip_cuid_81cd8cc6f859c2e9
__hip_cuid_81cd8cc6f859c2e9:
	.byte	0                               ; 0x0
	.size	__hip_cuid_81cd8cc6f859c2e9, 1

	.ident	"AMD clang version 22.0.0git (https://github.com/RadeonOpenCompute/llvm-project roc-7.2.4 26084 f58b06dce1f9c15707c5f808fd002e18c2accf7e)"
	.section	".note.GNU-stack","",@progbits
	.addrsig
	.addrsig_sym _Z56ncclDevFunc_ReduceScatter_RING_LL_PreMulSum_f8e4m3_0_0_1v
	.addrsig_sym _Z56ncclDevFunc_ReduceScatter_RING_LL_PreMulSum_f8e4m3_0_0_2v
	.addrsig_sym _Z56ncclDevFunc_ReduceScatter_RING_LL_PreMulSum_f8e4m3_0_0_4v
	.addrsig_sym ncclShmem
	.addrsig_sym __hip_cuid_81cd8cc6f859c2e9
	.amdgpu_metadata
---
amdhsa.kernels:  []
amdhsa.target:   amdgcn-amd-amdhsa--gfx1250
amdhsa.version:
  - 1
  - 2
...

	.end_amdgpu_metadata
